;; amdgpu-corpus repo=ROCm/rocFFT kind=compiled arch=gfx906 opt=O3
	.text
	.amdgcn_target "amdgcn-amd-amdhsa--gfx906"
	.amdhsa_code_object_version 6
	.protected	bluestein_single_fwd_len1014_dim1_half_op_CI_CI ; -- Begin function bluestein_single_fwd_len1014_dim1_half_op_CI_CI
	.globl	bluestein_single_fwd_len1014_dim1_half_op_CI_CI
	.p2align	8
	.type	bluestein_single_fwd_len1014_dim1_half_op_CI_CI,@function
bluestein_single_fwd_len1014_dim1_half_op_CI_CI: ; @bluestein_single_fwd_len1014_dim1_half_op_CI_CI
; %bb.0:
	s_load_dwordx4 s[16:19], s[4:5], 0x28
	v_mul_u32_u24_e32 v1, 0x349, v0
	v_lshrrev_b32_e32 v1, 16, v1
	v_lshl_add_u32 v24, s6, 1, v1
	v_mov_b32_e32 v25, 0
	s_waitcnt lgkmcnt(0)
	v_cmp_gt_u64_e32 vcc, s[16:17], v[24:25]
	s_and_saveexec_b64 s[0:1], vcc
	s_cbranch_execz .LBB0_10
; %bb.1:
	s_load_dwordx4 s[12:15], s[4:5], 0x18
	v_mul_lo_u16_e32 v2, 0x4e, v1
	v_sub_u16_e32 v55, v0, v2
	v_lshlrev_b32_e32 v33, 2, v55
	s_mov_b32 s23, 0xbbf1
	s_waitcnt lgkmcnt(0)
	s_load_dwordx4 s[8:11], s[12:13], 0x0
	s_movk_i32 s13, 0x388b
	s_mov_b32 s16, 0xb94e
	s_mov_b32 s17, 0xb9fd
	s_mov_b32 s22, 0xba95
	s_waitcnt lgkmcnt(0)
	v_mad_u64_u32 v[2:3], s[0:1], s10, v24, 0
	v_mad_u64_u32 v[4:5], s[0:1], s8, v55, 0
	v_mov_b32_e32 v0, v3
	s_mul_hi_u32 s12, s8, 0x138
	v_mov_b32_e32 v3, v5
	v_mad_u64_u32 v[5:6], s[0:1], s11, v24, v[0:1]
	v_mad_u64_u32 v[6:7], s[0:1], s9, v55, v[3:4]
	v_mov_b32_e32 v3, v5
	v_lshlrev_b64 v[2:3], 2, v[2:3]
	v_mov_b32_e32 v0, s19
	v_mov_b32_e32 v5, v6
	v_add_co_u32_e32 v6, vcc, s18, v2
	v_addc_co_u32_e32 v0, vcc, v0, v3, vcc
	v_lshlrev_b64 v[2:3], 2, v[4:5]
	s_load_dwordx4 s[0:3], s[4:5], 0x0
	s_load_dwordx2 s[10:11], s[4:5], 0x38
	v_add_co_u32_e32 v2, vcc, v6, v2
	v_addc_co_u32_e32 v3, vcc, v0, v3, vcc
	v_and_b32_e32 v0, 1, v1
	s_mulk_i32 s9, 0x138
	v_mov_b32_e32 v1, 0xfd8
	v_cmp_eq_u32_e32 vcc, 1, v0
	s_mulk_i32 s8, 0x138
	s_add_i32 s9, s12, s9
	global_load_dword v5, v[2:3], off
	v_cndmask_b32_e32 v58, 0, v1, vcc
	v_mov_b32_e32 v1, s9
	v_add_co_u32_e32 v0, vcc, s8, v2
	s_waitcnt lgkmcnt(0)
	global_load_dword v57, v33, s[0:1]
	v_addc_co_u32_e32 v1, vcc, v3, v1, vcc
	s_load_dwordx4 s[4:7], s[14:15], 0x0
	global_load_dword v56, v33, s[0:1] offset:312
	global_load_dword v54, v33, s[0:1] offset:624
	global_load_dword v2, v[0:1], off
	v_mov_b32_e32 v6, s9
	v_add_co_u32_e32 v0, vcc, s8, v0
	v_addc_co_u32_e32 v1, vcc, v1, v6, vcc
	global_load_dword v3, v[0:1], off
	v_mov_b32_e32 v7, s9
	v_add_co_u32_e32 v0, vcc, s8, v0
	v_addc_co_u32_e32 v1, vcc, v1, v7, vcc
	global_load_dword v6, v[0:1], off
	global_load_dword v53, v33, s[0:1] offset:936
	global_load_dword v52, v33, s[0:1] offset:1248
	;; [unrolled: 1-line block ×5, first 2 shown]
	v_add_co_u32_e32 v0, vcc, s8, v0
	v_addc_co_u32_e32 v1, vcc, v1, v7, vcc
	global_load_dword v7, v[0:1], off
	v_mov_b32_e32 v8, s9
	v_add_co_u32_e32 v0, vcc, s8, v0
	v_addc_co_u32_e32 v1, vcc, v1, v8, vcc
	global_load_dword v8, v[0:1], off
	global_load_dword v48, v33, s[0:1] offset:2496
	v_mov_b32_e32 v9, s9
	v_add_co_u32_e32 v0, vcc, s8, v0
	v_addc_co_u32_e32 v1, vcc, v1, v9, vcc
	global_load_dword v9, v[0:1], off
	v_mov_b32_e32 v10, s9
	v_add_co_u32_e32 v0, vcc, s8, v0
	v_addc_co_u32_e32 v1, vcc, v1, v10, vcc
	global_load_dword v10, v[0:1], off
	;; [unrolled: 4-line block ×4, first 2 shown]
	global_load_dword v47, v33, s[0:1] offset:2808
	v_mov_b32_e32 v15, s9
	v_add_co_u32_e32 v0, vcc, s8, v0
	v_addc_co_u32_e32 v1, vcc, v1, v15, vcc
	global_load_dword v15, v[0:1], off
	global_load_dword v46, v33, s[0:1] offset:3120
	v_mov_b32_e32 v16, s9
	v_add_co_u32_e32 v0, vcc, s8, v0
	v_addc_co_u32_e32 v1, vcc, v1, v16, vcc
	global_load_dword v16, v[0:1], off
	;; [unrolled: 5-line block ×3, first 2 shown]
	global_load_dword v44, v33, s[0:1] offset:3744
	v_add_u32_e32 v43, v58, v33
	s_mov_b32 s8, 0xb770
	s_movk_i32 s9, 0x3b15
	s_movk_i32 s12, 0x2fb7
	s_waitcnt vmcnt(25)
	v_lshrrev_b32_e32 v12, 16, v5
	s_mov_b32 s14, 0xbb7b
	s_mov_b32 s15, 0xb5ac
	;; [unrolled: 1-line block ×4, first 2 shown]
	s_waitcnt vmcnt(24)
	v_mul_f16_sdwa v13, v57, v12 dst_sel:DWORD dst_unused:UNUSED_PAD src0_sel:WORD_1 src1_sel:DWORD
	v_fma_f16 v13, v57, v5, v13
	v_mul_f16_sdwa v5, v57, v5 dst_sel:DWORD dst_unused:UNUSED_PAD src0_sel:WORD_1 src1_sel:DWORD
	v_fma_f16 v0, v57, v12, -v5
	v_pack_b32_f16 v0, v13, v0
	s_waitcnt vmcnt(21)
	v_lshrrev_b32_e32 v1, 16, v2
	v_mul_f16_sdwa v5, v56, v1 dst_sel:DWORD dst_unused:UNUSED_PAD src0_sel:WORD_1 src1_sel:DWORD
	v_fma_f16 v5, v56, v2, v5
	v_mul_f16_sdwa v2, v56, v2 dst_sel:DWORD dst_unused:UNUSED_PAD src0_sel:WORD_1 src1_sel:DWORD
	v_fma_f16 v1, v56, v1, -v2
	v_pack_b32_f16 v1, v5, v1
	ds_write2_b32 v43, v0, v1 offset1:78
	s_waitcnt vmcnt(20)
	v_lshrrev_b32_e32 v0, 16, v3
	v_mul_f16_sdwa v1, v54, v0 dst_sel:DWORD dst_unused:UNUSED_PAD src0_sel:WORD_1 src1_sel:DWORD
	v_mul_f16_sdwa v2, v54, v3 dst_sel:DWORD dst_unused:UNUSED_PAD src0_sel:WORD_1 src1_sel:DWORD
	v_fma_f16 v1, v54, v3, v1
	v_fma_f16 v0, v54, v0, -v2
	v_pack_b32_f16 v0, v1, v0
	s_waitcnt vmcnt(19)
	v_lshrrev_b32_e32 v1, 16, v6
	s_waitcnt vmcnt(18)
	v_mul_f16_sdwa v2, v53, v1 dst_sel:DWORD dst_unused:UNUSED_PAD src0_sel:WORD_1 src1_sel:DWORD
	v_mul_f16_sdwa v3, v53, v6 dst_sel:DWORD dst_unused:UNUSED_PAD src0_sel:WORD_1 src1_sel:DWORD
	v_fma_f16 v2, v53, v6, v2
	v_fma_f16 v1, v53, v1, -v3
	v_pack_b32_f16 v1, v2, v1
	ds_write2_b32 v43, v0, v1 offset0:156 offset1:234
	s_waitcnt vmcnt(13)
	v_lshrrev_b32_e32 v0, 16, v7
	v_mul_f16_sdwa v1, v52, v0 dst_sel:DWORD dst_unused:UNUSED_PAD src0_sel:WORD_1 src1_sel:DWORD
	v_mul_f16_sdwa v2, v52, v7 dst_sel:DWORD dst_unused:UNUSED_PAD src0_sel:WORD_1 src1_sel:DWORD
	v_fma_f16 v1, v52, v7, v1
	v_fma_f16 v0, v52, v0, -v2
	v_pack_b32_f16 v0, v1, v0
	s_waitcnt vmcnt(12)
	v_lshrrev_b32_e32 v1, 16, v8
	v_mul_f16_sdwa v2, v51, v1 dst_sel:DWORD dst_unused:UNUSED_PAD src0_sel:WORD_1 src1_sel:DWORD
	v_mul_f16_sdwa v3, v51, v8 dst_sel:DWORD dst_unused:UNUSED_PAD src0_sel:WORD_1 src1_sel:DWORD
	v_fma_f16 v2, v51, v8, v2
	v_fma_f16 v1, v51, v1, -v3
	v_pack_b32_f16 v1, v2, v1
	v_add_u32_e32 v6, 0x400, v43
	ds_write2_b32 v6, v0, v1 offset0:56 offset1:134
	s_waitcnt vmcnt(10)
	v_lshrrev_b32_e32 v0, 16, v9
	v_mul_f16_sdwa v1, v50, v0 dst_sel:DWORD dst_unused:UNUSED_PAD src0_sel:WORD_1 src1_sel:DWORD
	v_mul_f16_sdwa v2, v50, v9 dst_sel:DWORD dst_unused:UNUSED_PAD src0_sel:WORD_1 src1_sel:DWORD
	v_fma_f16 v1, v50, v9, v1
	v_fma_f16 v0, v50, v0, -v2
	v_pack_b32_f16 v0, v1, v0
	s_waitcnt vmcnt(9)
	v_lshrrev_b32_e32 v1, 16, v10
	v_mul_f16_sdwa v2, v49, v1 dst_sel:DWORD dst_unused:UNUSED_PAD src0_sel:WORD_1 src1_sel:DWORD
	v_mul_f16_sdwa v3, v49, v10 dst_sel:DWORD dst_unused:UNUSED_PAD src0_sel:WORD_1 src1_sel:DWORD
	v_fma_f16 v2, v49, v10, v2
	v_fma_f16 v1, v49, v1, -v3
	v_pack_b32_f16 v1, v2, v1
	v_add_u32_e32 v7, 0x600, v43
	ds_write2_b32 v7, v0, v1 offset0:84 offset1:162
	s_waitcnt vmcnt(8)
	v_lshrrev_b32_e32 v0, 16, v11
	v_mul_f16_sdwa v1, v48, v0 dst_sel:DWORD dst_unused:UNUSED_PAD src0_sel:WORD_1 src1_sel:DWORD
	v_mul_f16_sdwa v2, v48, v11 dst_sel:DWORD dst_unused:UNUSED_PAD src0_sel:WORD_1 src1_sel:DWORD
	v_fma_f16 v1, v48, v11, v1
	v_fma_f16 v0, v48, v0, -v2
	v_pack_b32_f16 v0, v1, v0
	s_waitcnt vmcnt(7)
	v_lshrrev_b32_e32 v1, 16, v14
	s_waitcnt vmcnt(6)
	v_mul_f16_sdwa v2, v47, v1 dst_sel:DWORD dst_unused:UNUSED_PAD src0_sel:WORD_1 src1_sel:DWORD
	v_mul_f16_sdwa v3, v47, v14 dst_sel:DWORD dst_unused:UNUSED_PAD src0_sel:WORD_1 src1_sel:DWORD
	v_fma_f16 v2, v47, v14, v2
	v_fma_f16 v1, v47, v1, -v3
	v_pack_b32_f16 v1, v2, v1
	v_add_u32_e32 v8, 0x800, v43
	ds_write2_b32 v8, v0, v1 offset0:112 offset1:190
	s_waitcnt vmcnt(5)
	v_lshrrev_b32_e32 v0, 16, v15
	s_waitcnt vmcnt(4)
	v_mul_f16_sdwa v1, v46, v0 dst_sel:DWORD dst_unused:UNUSED_PAD src0_sel:WORD_1 src1_sel:DWORD
	v_mul_f16_sdwa v2, v46, v15 dst_sel:DWORD dst_unused:UNUSED_PAD src0_sel:WORD_1 src1_sel:DWORD
	v_fma_f16 v1, v46, v15, v1
	v_fma_f16 v0, v46, v0, -v2
	v_pack_b32_f16 v0, v1, v0
	s_waitcnt vmcnt(3)
	v_lshrrev_b32_e32 v1, 16, v16
	s_waitcnt vmcnt(2)
	v_mul_f16_sdwa v2, v45, v1 dst_sel:DWORD dst_unused:UNUSED_PAD src0_sel:WORD_1 src1_sel:DWORD
	v_mul_f16_sdwa v3, v45, v16 dst_sel:DWORD dst_unused:UNUSED_PAD src0_sel:WORD_1 src1_sel:DWORD
	v_fma_f16 v2, v45, v16, v2
	v_fma_f16 v1, v45, v1, -v3
	v_pack_b32_f16 v1, v2, v1
	v_add_u32_e32 v5, 0xc00, v43
	ds_write2_b32 v5, v0, v1 offset0:12 offset1:90
	s_waitcnt vmcnt(1)
	v_lshrrev_b32_e32 v0, 16, v17
	s_waitcnt vmcnt(0)
	v_mul_f16_sdwa v1, v44, v0 dst_sel:DWORD dst_unused:UNUSED_PAD src0_sel:WORD_1 src1_sel:DWORD
	v_mul_f16_sdwa v2, v44, v17 dst_sel:DWORD dst_unused:UNUSED_PAD src0_sel:WORD_1 src1_sel:DWORD
	v_fma_f16 v1, v44, v17, v1
	v_fma_f16 v0, v44, v0, -v2
	v_pack_b32_f16 v0, v1, v0
	ds_write_b32 v43, v0 offset:3744
	v_mul_lo_u16_e32 v0, 13, v55
	s_waitcnt lgkmcnt(0)
	s_barrier
	v_lshl_add_u32 v34, v0, 2, v58
	ds_read2_b32 v[11:12], v43 offset0:156 offset1:234
	ds_read2_b32 v[22:23], v6 offset0:56 offset1:134
	ds_read2_b32 v[0:1], v43 offset1:78
	ds_read2_b32 v[2:3], v7 offset0:84 offset1:162
	ds_read2_b32 v[25:26], v8 offset0:112 offset1:190
	;; [unrolled: 1-line block ×3, first 2 shown]
	ds_read_b32 v13, v43 offset:3744
	s_waitcnt lgkmcnt(4)
	v_pk_add_f16 v9, v0, v1
	v_pk_add_f16 v9, v9, v11
	;; [unrolled: 1-line block ×5, first 2 shown]
	s_waitcnt lgkmcnt(3)
	v_pk_add_f16 v9, v9, v2
	v_pk_add_f16 v9, v9, v3
	s_waitcnt lgkmcnt(2)
	v_pk_add_f16 v9, v9, v25
	v_pk_add_f16 v9, v9, v26
	;; [unrolled: 3-line block ×4, first 2 shown]
	v_pk_add_f16 v1, v1, v13 neg_lo:[0,1] neg_hi:[0,1]
	v_mul_f16_sdwa v13, v1, s8 dst_sel:DWORD dst_unused:UNUSED_PAD src0_sel:WORD_1 src1_sel:DWORD
	v_fma_f16 v16, v9, s9, -v13
	v_fma_f16 v13, v9, s9, v13
	s_mov_b32 s8, 0x3b15388b
	v_add_f16_e32 v18, v0, v13
	v_pk_mul_f16 v13, v9, s8
	s_mov_b32 s8, 0xba95b770
	v_pk_fma_f16 v17, v1, s8, v13 op_sel:[0,0,1] op_sel_hi:[1,1,0] neg_lo:[1,0,0] neg_hi:[1,0,0]
	v_pk_fma_f16 v13, v1, s8, v13 op_sel:[0,0,1] op_sel_hi:[1,1,0]
	s_mov_b32 s8, 0xffff
	v_bfi_b32 v19, s8, v13, v17
	v_pk_add_f16 v20, v0, v19 op_sel:[1,0] op_sel_hi:[0,1]
	v_lshrrev_b32_e32 v19, 16, v9
	v_mul_f16_e32 v21, 0xba95, v1
	v_pk_add_f16 v28, v0, v13 op_sel:[1,0] op_sel_hi:[0,1]
	v_fma_f16 v13, v19, s13, -v21
	v_fma_f16 v27, v19, s13, v21
	v_add_f16_sdwa v21, v0, v13 dst_sel:DWORD dst_unused:UNUSED_PAD src0_sel:WORD_1 src1_sel:DWORD
	v_mul_f16_sdwa v13, v1, s23 dst_sel:DWORD dst_unused:UNUSED_PAD src0_sel:WORD_1 src1_sel:DWORD
	v_fma_f16 v29, v9, s12, -v13
	v_mul_f16_e32 v30, 0xbbf1, v1
	v_fma_f16 v13, v9, s12, v13
	v_add_f16_e32 v32, v0, v13
	v_fma_f16 v13, v19, s12, -v30
	v_fma_f16 v31, v19, s12, v30
	v_add_f16_sdwa v30, v0, v13 dst_sel:DWORD dst_unused:UNUSED_PAD src0_sel:WORD_1 src1_sel:DWORD
	v_mul_f16_sdwa v13, v1, s14 dst_sel:DWORD dst_unused:UNUSED_PAD src0_sel:WORD_1 src1_sel:DWORD
	v_fma_f16 v35, v9, s15, -v13
	v_mul_f16_e32 v36, 0xbb7b, v1
	v_fma_f16 v13, v9, s15, v13
	v_add_f16_e32 v38, v0, v13
	v_fma_f16 v13, v19, s15, -v36
	v_fma_f16 v37, v19, s15, v36
	v_add_f16_sdwa v36, v0, v13 dst_sel:DWORD dst_unused:UNUSED_PAD src0_sel:WORD_1 src1_sel:DWORD
	v_mul_f16_sdwa v13, v1, s16 dst_sel:DWORD dst_unused:UNUSED_PAD src0_sel:WORD_1 src1_sel:DWORD
	v_fma_f16 v39, v9, s17, -v13
	v_mul_f16_e32 v40, 0xb94e, v1
	v_fma_f16 v13, v9, s17, v13
	v_add_f16_e32 v42, v0, v13
	v_fma_f16 v13, v19, s17, -v40
	v_fma_f16 v41, v19, s17, v40
	v_add_f16_sdwa v40, v0, v13 dst_sel:DWORD dst_unused:UNUSED_PAD src0_sel:WORD_1 src1_sel:DWORD
	v_pk_add_f16 v13, v15, v11
	v_pk_add_f16 v11, v11, v15 neg_lo:[0,1] neg_hi:[0,1]
	v_mul_f16_sdwa v15, v11, s22 dst_sel:DWORD dst_unused:UNUSED_PAD src0_sel:WORD_1 src1_sel:DWORD
	v_fma_f16 v19, v13, s13, -v15
	v_fma_f16 v15, v13, s13, v15
	v_add_f16_e32 v16, v0, v16
	v_add_f16_e32 v18, v15, v18
	v_pk_mul_f16 v15, v13, s18
	s_mov_b32 s18, 0xbb7bba95
	v_add_f16_e32 v16, v19, v16
	v_pk_fma_f16 v19, v11, s18, v15 op_sel:[0,0,1] op_sel_hi:[1,1,0] neg_lo:[1,0,0] neg_hi:[1,0,0]
	v_pk_fma_f16 v15, v11, s18, v15 op_sel:[0,0,1] op_sel_hi:[1,1,0]
	v_bfi_b32 v59, s8, v15, v19
	v_pk_add_f16 v20, v59, v20
	v_lshrrev_b32_e32 v59, 16, v13
	v_mul_f16_e32 v60, 0xbb7b, v11
	v_pk_add_f16 v28, v15, v28
	v_fma_f16 v15, v59, s15, -v60
	v_add_f16_e32 v21, v15, v21
	v_mul_f16_sdwa v15, v11, s19 dst_sel:DWORD dst_unused:UNUSED_PAD src0_sel:WORD_1 src1_sel:DWORD
	s_mov_b32 s20, 0xbbc4
	v_add_f16_e32 v29, v0, v29
	v_fma_f16 v61, v59, s15, v60
	v_fma_f16 v60, v13, s20, -v15
	v_add_f16_e32 v29, v60, v29
	v_mul_f16_e32 v60, 0xb3a8, v11
	v_fma_f16 v15, v13, s20, v15
	v_add_f16_e32 v32, v15, v32
	v_fma_f16 v15, v59, s20, -v60
	s_movk_i32 s18, 0x394e
	v_add_f16_sdwa v27, v0, v27 dst_sel:DWORD dst_unused:UNUSED_PAD src0_sel:WORD_1 src1_sel:DWORD
	v_add_f16_e32 v30, v15, v30
	v_mul_f16_sdwa v15, v11, s18 dst_sel:DWORD dst_unused:UNUSED_PAD src0_sel:WORD_1 src1_sel:DWORD
	v_add_f16_e32 v35, v0, v35
	v_add_f16_e32 v27, v61, v27
	v_fma_f16 v61, v59, s20, v60
	v_fma_f16 v60, v13, s17, -v15
	v_add_f16_e32 v35, v60, v35
	v_mul_f16_e32 v60, 0x394e, v11
	v_fma_f16 v15, v13, s17, v15
	v_add_f16_e32 v38, v15, v38
	v_fma_f16 v15, v59, s17, -v60
	s_movk_i32 s18, 0x3bf1
	v_add_f16_sdwa v31, v0, v31 dst_sel:DWORD dst_unused:UNUSED_PAD src0_sel:WORD_1 src1_sel:DWORD
	v_add_f16_e32 v36, v15, v36
	v_mul_f16_sdwa v15, v11, s18 dst_sel:DWORD dst_unused:UNUSED_PAD src0_sel:WORD_1 src1_sel:DWORD
	v_add_f16_e32 v39, v0, v39
	v_add_f16_e32 v31, v61, v31
	v_fma_f16 v61, v59, s17, v60
	v_fma_f16 v60, v13, s12, -v15
	v_add_f16_e32 v39, v60, v39
	v_mul_f16_e32 v60, 0x3bf1, v11
	v_fma_f16 v15, v13, s12, v15
	v_add_f16_e32 v42, v15, v42
	v_fma_f16 v15, v59, s12, -v60
	v_add_f16_e32 v40, v15, v40
	v_pk_add_f16 v15, v14, v12
	v_pk_add_f16 v14, v12, v14 neg_lo:[0,1] neg_hi:[0,1]
	v_add_f16_sdwa v37, v0, v37 dst_sel:DWORD dst_unused:UNUSED_PAD src0_sel:WORD_1 src1_sel:DWORD
	v_mul_f16_sdwa v12, v14, s23 dst_sel:DWORD dst_unused:UNUSED_PAD src0_sel:WORD_1 src1_sel:DWORD
	v_add_f16_e32 v37, v61, v37
	v_fma_f16 v61, v59, s12, v60
	v_fma_f16 v59, v15, s12, -v12
	v_fma_f16 v12, v15, s12, v12
	s_mov_b32 s21, 0x2fb7bbc4
	v_add_f16_e32 v12, v12, v18
	v_pk_mul_f16 v18, v15, s21
	s_mov_b32 s21, 0xb3a8bbf1
	v_add_f16_e32 v16, v59, v16
	v_pk_fma_f16 v59, v14, s21, v18 op_sel:[0,0,1] op_sel_hi:[1,1,0] neg_lo:[1,0,0] neg_hi:[1,0,0]
	v_pk_fma_f16 v18, v14, s21, v18 op_sel:[0,0,1] op_sel_hi:[1,1,0]
	v_add_f16_sdwa v41, v0, v41 dst_sel:DWORD dst_unused:UNUSED_PAD src0_sel:WORD_1 src1_sel:DWORD
	v_bfi_b32 v60, s8, v18, v59
	v_add_f16_e32 v41, v61, v41
	v_pk_add_f16 v60, v60, v20
	v_lshrrev_b32_e32 v20, 16, v15
	v_mul_f16_e32 v61, 0xb3a8, v14
	v_pk_add_f16 v18, v18, v28
	v_fma_f16 v28, v20, s20, -v61
	s_movk_i32 s21, 0x3b7b
	v_add_f16_e32 v28, v28, v21
	v_mul_f16_sdwa v21, v14, s21 dst_sel:DWORD dst_unused:UNUSED_PAD src0_sel:WORD_1 src1_sel:DWORD
	v_fma_f16 v62, v20, s20, v61
	v_fma_f16 v61, v15, s15, -v21
	v_add_f16_e32 v29, v61, v29
	v_mul_f16_e32 v61, 0x3b7b, v14
	v_fma_f16 v21, v15, s15, v21
	v_add_f16_e32 v32, v21, v32
	v_fma_f16 v21, v20, s15, -v61
	s_movk_i32 s21, 0x3770
	v_add_f16_e32 v30, v21, v30
	v_mul_f16_sdwa v21, v14, s21 dst_sel:DWORD dst_unused:UNUSED_PAD src0_sel:WORD_1 src1_sel:DWORD
	v_add_f16_e32 v27, v62, v27
	v_fma_f16 v62, v20, s15, v61
	v_fma_f16 v61, v15, s9, -v21
	v_add_f16_e32 v35, v61, v35
	v_mul_f16_e32 v61, 0x3770, v14
	v_fma_f16 v21, v15, s9, v21
	v_add_f16_e32 v38, v21, v38
	v_fma_f16 v21, v20, s9, -v61
	v_add_f16_e32 v36, v21, v36
	v_mul_f16_sdwa v21, v14, s22 dst_sel:DWORD dst_unused:UNUSED_PAD src0_sel:WORD_1 src1_sel:DWORD
	v_add_f16_e32 v31, v62, v31
	v_fma_f16 v62, v20, s9, v61
	v_fma_f16 v61, v15, s13, -v21
	v_add_f16_e32 v39, v61, v39
	v_mul_f16_e32 v61, 0xba95, v14
	v_add_f16_e32 v37, v62, v37
	v_fma_f16 v62, v20, s13, v61
	v_fma_f16 v20, v20, s13, -v61
	v_fma_f16 v21, v15, s13, v21
	v_add_f16_e32 v40, v20, v40
	v_pk_add_f16 v20, v22, v26 neg_lo:[0,1] neg_hi:[0,1]
	v_add_f16_e32 v42, v21, v42
	v_pk_add_f16 v21, v26, v22
	v_mul_f16_sdwa v22, v20, s14 dst_sel:DWORD dst_unused:UNUSED_PAD src0_sel:WORD_1 src1_sel:DWORD
	v_fma_f16 v26, v21, s15, -v22
	v_add_f16_e32 v26, v26, v16
	v_fma_f16 v16, v21, s15, v22
	s_mov_b32 s24, 0xb5acb9fd
	v_add_f16_e32 v12, v16, v12
	v_pk_mul_f16 v16, v21, s24
	s_mov_b32 s24, 0x394ebb7b
	v_pk_fma_f16 v22, v20, s24, v16 op_sel:[0,0,1] op_sel_hi:[1,1,0] neg_lo:[1,0,0] neg_hi:[1,0,0]
	v_pk_fma_f16 v16, v20, s24, v16 op_sel:[0,0,1] op_sel_hi:[1,1,0]
	v_bfi_b32 v61, s8, v16, v22
	v_add_f16_e32 v41, v62, v41
	v_pk_add_f16 v60, v61, v60
	v_lshrrev_b32_e32 v61, 16, v21
	v_mul_f16_e32 v62, 0x394e, v20
	v_pk_add_f16 v16, v16, v18
	v_fma_f16 v18, v61, s17, -v62
	v_add_f16_e32 v28, v18, v28
	v_mul_f16_sdwa v18, v20, s21 dst_sel:DWORD dst_unused:UNUSED_PAD src0_sel:WORD_1 src1_sel:DWORD
	v_fma_f16 v63, v61, s17, v62
	v_fma_f16 v62, v21, s9, -v18
	v_add_f16_e32 v29, v62, v29
	v_mul_f16_e32 v62, 0x3770, v20
	v_fma_f16 v18, v21, s9, v18
	v_add_f16_e32 v32, v18, v32
	v_fma_f16 v18, v61, s9, -v62
	v_add_f16_e32 v18, v18, v30
	v_mul_f16_sdwa v30, v20, s23 dst_sel:DWORD dst_unused:UNUSED_PAD src0_sel:WORD_1 src1_sel:DWORD
	v_add_f16_e32 v27, v63, v27
	v_fma_f16 v63, v61, s9, v62
	v_fma_f16 v62, v21, s12, -v30
	v_add_f16_e32 v35, v62, v35
	v_mul_f16_e32 v62, 0xbbf1, v20
	v_fma_f16 v30, v21, s12, v30
	v_add_f16_e32 v30, v30, v38
	v_fma_f16 v38, v61, s12, -v62
	s_movk_i32 s23, 0x33a8
	v_add_f16_e32 v36, v38, v36
	v_mul_f16_sdwa v38, v20, s23 dst_sel:DWORD dst_unused:UNUSED_PAD src0_sel:WORD_1 src1_sel:DWORD
	v_add_f16_e32 v31, v63, v31
	v_fma_f16 v63, v61, s12, v62
	v_fma_f16 v62, v21, s20, -v38
	v_add_f16_e32 v39, v62, v39
	v_mul_f16_e32 v62, 0x33a8, v20
	v_fma_f16 v38, v21, s20, v38
	v_add_f16_e32 v38, v38, v42
	v_fma_f16 v42, v61, s20, -v62
	v_add_f16_e32 v40, v42, v40
	v_pk_add_f16 v42, v25, v23
	v_pk_add_f16 v23, v23, v25 neg_lo:[0,1] neg_hi:[0,1]
	v_mul_f16_sdwa v25, v23, s16 dst_sel:DWORD dst_unused:UNUSED_PAD src0_sel:WORD_1 src1_sel:DWORD
	v_add_f16_e32 v37, v63, v37
	v_fma_f16 v63, v61, s20, v62
	v_fma_f16 v61, v42, s17, -v25
	v_fma_f16 v25, v42, s17, v25
	s_mov_b32 s24, 0xb9fd2fb7
	v_add_f16_e32 v12, v25, v12
	v_pk_mul_f16 v25, v42, s24
	s_mov_b32 s24, 0x3bf1b94e
	v_add_f16_e32 v26, v61, v26
	v_pk_fma_f16 v61, v23, s24, v25 op_sel:[0,0,1] op_sel_hi:[1,1,0] neg_lo:[1,0,0] neg_hi:[1,0,0]
	v_pk_fma_f16 v25, v23, s24, v25 op_sel:[0,0,1] op_sel_hi:[1,1,0]
	v_bfi_b32 v62, s8, v25, v61
	v_add_f16_e32 v41, v63, v41
	v_pk_add_f16 v60, v62, v60
	v_lshrrev_b32_e32 v62, 16, v42
	v_mul_f16_e32 v63, 0x3bf1, v23
	v_fma_f16 v64, v62, s12, v63
	v_fma_f16 v63, v62, s12, -v63
	v_add_f16_e32 v28, v63, v28
	v_mul_f16_sdwa v63, v23, s22 dst_sel:DWORD dst_unused:UNUSED_PAD src0_sel:WORD_1 src1_sel:DWORD
	v_add_f16_e32 v27, v64, v27
	v_fma_f16 v64, v42, s13, -v63
	v_add_f16_e32 v29, v64, v29
	v_mul_f16_e32 v64, 0xba95, v23
	v_fma_f16 v63, v42, s13, v63
	v_fma_f16 v65, v62, s13, v64
	v_add_f16_e32 v32, v63, v32
	v_fma_f16 v63, v62, s13, -v64
	v_mul_f16_sdwa v64, v23, s23 dst_sel:DWORD dst_unused:UNUSED_PAD src0_sel:WORD_1 src1_sel:DWORD
	v_add_f16_e32 v31, v65, v31
	v_fma_f16 v65, v42, s20, -v64
	v_add_f16_e32 v65, v65, v35
	v_mul_f16_e32 v35, 0x33a8, v23
	v_fma_f16 v66, v62, s20, v35
	v_fma_f16 v35, v62, s20, -v35
	v_fma_f16 v64, v42, s20, v64
	v_add_f16_e32 v36, v35, v36
	v_mul_f16_sdwa v35, v23, s21 dst_sel:DWORD dst_unused:UNUSED_PAD src0_sel:WORD_1 src1_sel:DWORD
	v_add_f16_e32 v30, v64, v30
	v_fma_f16 v64, v42, s9, -v35
	v_add_f16_sdwa v17, v0, v17 dst_sel:DWORD dst_unused:UNUSED_PAD src0_sel:WORD_1 src1_sel:DWORD
	v_add_f16_e32 v39, v64, v39
	v_mul_f16_e32 v64, 0x3770, v23
	v_fma_f16 v35, v42, s9, v35
	v_add_f16_e32 v17, v19, v17
	v_add_f16_e32 v37, v66, v37
	v_fma_f16 v66, v62, s9, v64
	v_add_f16_e32 v38, v35, v38
	v_fma_f16 v35, v62, s9, -v64
	v_pk_add_f16 v62, v3, v2
	v_pk_add_f16 v2, v2, v3 neg_lo:[0,1] neg_hi:[0,1]
	v_add_f16_e32 v17, v59, v17
	v_mul_f16_sdwa v3, v2, s19 dst_sel:DWORD dst_unused:UNUSED_PAD src0_sel:WORD_1 src1_sel:DWORD
	v_add_f16_e32 v17, v22, v17
	v_lshrrev_b32_e32 v19, 16, v62
	v_mul_f16_e32 v22, 0x3770, v2
	v_add_f16_e32 v40, v35, v40
	v_fma_f16 v35, v62, s20, -v3
	v_fma_f16 v3, v62, s20, v3
	s_mov_b32 s22, 0xbbc43b15
	v_fma_f16 v59, v19, s9, v22
	v_fma_f16 v22, v19, s9, -v22
	v_add_f16_e32 v12, v3, v12
	v_pk_mul_f16 v3, v62, s22
	s_mov_b32 s22, 0x3770b3a8
	v_add_f16_e32 v22, v22, v28
	v_mul_f16_sdwa v28, v2, s16 dst_sel:DWORD dst_unused:UNUSED_PAD src0_sel:WORD_1 src1_sel:DWORD
	v_add_f16_e32 v41, v66, v41
	v_pk_fma_f16 v66, v2, s22, v3 op_sel:[0,0,1] op_sel_hi:[1,1,0] neg_lo:[1,0,0] neg_hi:[1,0,0]
	v_add_f16_e32 v17, v61, v17
	v_add_f16_e32 v27, v59, v27
	v_fma_f16 v59, v62, s17, -v28
	v_add_f16_e32 v26, v35, v26
	v_pk_mul_f16 v64, v2, s22
	v_add_f16_e32 v35, v66, v17
	v_pk_fma_f16 v17, v2, s22, v3 op_sel:[0,0,1] op_sel_hi:[1,1,0]
	v_add_f16_e32 v29, v59, v29
	v_mul_f16_e32 v59, 0xb9fd, v19
	v_fma_f16 v28, v62, s17, v28
	s_movk_i32 s22, 0x3a95
	v_fma_f16 v61, v2, s16, v59
	v_add_f16_e32 v28, v28, v32
	v_mul_f16_sdwa v32, v2, s22 dst_sel:DWORD dst_unused:UNUSED_PAD src0_sel:WORD_1 src1_sel:DWORD
	v_add_f16_e32 v31, v61, v31
	v_fma_f16 v61, v62, s13, -v32
	v_add_f16_e32 v61, v61, v65
	v_mul_f16_e32 v65, 0x3a95, v2
	v_fma_f16 v32, v62, s13, v32
	v_add_f16_e32 v30, v32, v30
	v_fma_f16 v32, v19, s13, -v65
	v_add_f16_e32 v32, v32, v36
	v_mul_f16_sdwa v36, v2, s14 dst_sel:DWORD dst_unused:UNUSED_PAD src0_sel:WORD_1 src1_sel:DWORD
	v_bfi_b32 v17, s8, v17, v66
	v_fma_f16 v66, v19, s13, v65
	v_fma_f16 v65, v62, s15, -v36
	v_pk_add_f16 v17, v17, v60
	v_add_f16_e32 v39, v65, v39
	v_mul_f16_e32 v65, 0xbb7b, v2
	v_add_f16_e32 v37, v66, v37
	v_fma_f16 v66, v19, s15, v65
	v_alignbit_b32 v27, v27, v17, 16
	v_pack_b32_f16 v17, v26, v17
	v_add_f16_e32 v41, v66, v41
	s_barrier
	ds_write2_b32 v34, v17, v27 offset0:1 offset1:2
	v_pack_b32_f16 v17, v61, v37
	v_pack_b32_f16 v26, v29, v31
	ds_write2_b32 v34, v26, v17 offset0:3 offset1:4
	v_pack_b32_f16 v17, v39, v41
	v_pk_mul_f16 v9, v9, s20 op_sel_hi:[1,0]
	ds_write2_b32 v34, v10, v17 offset1:5
	v_pk_fma_f16 v10, v1, s19, v9 op_sel:[0,0,1] op_sel_hi:[1,0,0] neg_lo:[1,0,0] neg_hi:[1,0,0]
	v_pk_fma_f16 v1, v1, s19, v9 op_sel:[0,0,1] op_sel_hi:[1,0,0]
	v_pk_add_f16 v10, v0, v10 op_sel:[1,0] op_sel_hi:[0,1]
	v_pk_add_f16 v0, v0, v1 op_sel:[1,0] op_sel_hi:[0,1]
	v_pk_mul_f16 v1, v13, s9 op_sel_hi:[1,0]
	v_pk_fma_f16 v9, v11, s21, v1 op_sel:[0,0,1] op_sel_hi:[1,0,0] neg_lo:[1,0,0] neg_hi:[1,0,0]
	v_pk_fma_f16 v1, v11, s21, v1 op_sel:[0,0,1] op_sel_hi:[1,0,0]
	v_pk_add_f16 v0, v1, v0
	v_pk_mul_f16 v1, v15, s17 op_sel_hi:[1,0]
	v_pk_add_f16 v9, v9, v10
	v_pk_fma_f16 v10, v14, s16, v1 op_sel:[0,0,1] op_sel_hi:[1,0,0] neg_lo:[1,0,0] neg_hi:[1,0,0]
	v_pk_fma_f16 v1, v14, s16, v1 op_sel:[0,0,1] op_sel_hi:[1,0,0]
	v_pk_add_f16 v0, v1, v0
	v_pk_mul_f16 v1, v21, s13 op_sel_hi:[1,0]
	v_pk_add_f16 v9, v10, v9
	;; [unrolled: 5-line block ×4, first 2 shown]
	v_pk_fma_f16 v10, v2, s18, v1 op_sel:[0,0,1] op_sel_hi:[1,0,0] neg_lo:[1,0,0] neg_hi:[1,0,0]
	v_pk_fma_f16 v1, v2, s18, v1 op_sel:[0,0,1] op_sel_hi:[1,0,0]
	v_fma_f16 v36, v62, s15, v36
	v_fma_f16 v19, v19, s15, -v65
	v_pk_add_f16 v9, v10, v9
	v_pk_add_f16 v0, v1, v0
	v_add_f16_e32 v36, v36, v38
	v_add_f16_e32 v19, v19, v40
	v_alignbit_b32 v1, v9, v0, 16
	v_alignbit_b32 v0, v0, v9, 16
	ds_write2_b32 v34, v0, v1 offset0:6 offset1:7
	v_pack_b32_f16 v0, v30, v32
	v_pack_b32_f16 v1, v36, v19
	v_mul_f16_e32 v60, 0xb94e, v2
	ds_write2_b32 v34, v1, v0 offset0:8 offset1:9
	v_pack_b32_f16 v0, v63, v3
	v_bfi_b32 v1, s8, v18, v64
	v_pk_add_f16 v0, v0, v1
	v_bfi_b32 v1, s8, v60, v16
	v_pk_add_f16 v1, v59, v1 neg_lo:[0,1] neg_hi:[0,1]
	v_pk_add_f16 v2, v25, v16
	v_bfi_b32 v1, s8, v1, v2
	v_pk_add_f16 v0, v1, v0
	v_alignbit_b32 v1, v22, v0, 16
	v_pack_b32_f16 v0, v28, v0
	ds_write2_b32 v34, v0, v1 offset0:10 offset1:11
	v_pack_b32_f16 v0, v12, v35
	ds_write_b32 v34, v0 offset:48
	s_waitcnt lgkmcnt(0)
	s_barrier
	ds_read2_b32 v[14:15], v43 offset1:78
	ds_read2_b32 v[22:23], v43 offset0:169 offset1:247
	ds_read2_b32 v[25:26], v6 offset0:82 offset1:160
	;; [unrolled: 1-line block ×5, first 2 shown]
	v_mov_b32_e32 v4, s1
	v_add_co_u32_e32 v31, vcc, s0, v33
	v_addc_co_u32_e32 v32, vcc, 0, v4, vcc
	v_cmp_gt_u16_e32 vcc, 13, v55
                                        ; implicit-def: $vgpr37
                                        ; implicit-def: $vgpr27
                                        ; implicit-def: $vgpr38
                                        ; implicit-def: $vgpr39
                                        ; implicit-def: $vgpr29
                                        ; implicit-def: $vgpr40
                                        ; implicit-def: $vgpr41
	s_and_saveexec_b64 s[8:9], vcc
	s_cbranch_execz .LBB0_3
; %bb.2:
	v_add_u32_e32 v0, 0x200, v43
	ds_read2_b32 v[12:13], v0 offset0:28 offset1:197
	v_add_u32_e32 v0, 0x700, v43
	ds_read2_b32 v[27:28], v0 offset0:46 offset1:215
	ds_read2_b32 v[29:30], v5 offset0:64 offset1:233
	s_waitcnt lgkmcnt(2)
	v_lshrrev_b32_e32 v35, 16, v12
	v_lshrrev_b32_e32 v37, 16, v13
	s_waitcnt lgkmcnt(1)
	v_lshrrev_b32_e32 v38, 16, v27
	v_lshrrev_b32_e32 v39, 16, v28
	;; [unrolled: 3-line block ×3, first 2 shown]
.LBB0_3:
	s_or_b64 exec, exec, s[8:9]
	s_movk_i32 s12, 0x4f
	v_mul_lo_u16_sdwa v0, v55, s12 dst_sel:DWORD dst_unused:UNUSED_PAD src0_sel:BYTE_0 src1_sel:DWORD
	v_lshrrev_b16_e32 v42, 10, v0
	v_mul_lo_u16_e32 v0, 13, v42
	v_sub_u16_e32 v0, v55, v0
	v_add_u16_e32 v2, 0x4e, v55
	v_and_b32_e32 v68, 0xff, v0
	v_mul_lo_u16_sdwa v3, v2, s12 dst_sel:DWORD dst_unused:UNUSED_PAD src0_sel:BYTE_0 src1_sel:DWORD
	v_mad_u64_u32 v[0:1], s[8:9], v68, 20, s[2:3]
	v_lshrrev_b16_e32 v69, 10, v3
	v_mul_lo_u16_e32 v3, 13, v69
	v_sub_u16_e32 v2, v2, v3
	v_and_b32_e32 v70, 0xff, v2
	v_add_u16_e32 v2, 0x9c, v55
	global_load_dwordx4 v[4:7], v[0:1], off
	global_load_dword v62, v[0:1], off offset:16
	v_mul_lo_u16_sdwa v0, v2, s12 dst_sel:DWORD dst_unused:UNUSED_PAD src0_sel:BYTE_0 src1_sel:DWORD
	v_lshrrev_b16_e32 v0, 10, v0
	v_mul_lo_u16_e32 v0, 13, v0
	v_sub_u16_e32 v59, v2, v0
	v_mad_u64_u32 v[63:64], s[8:9], v70, 20, s[2:3]
	v_and_b32_e32 v36, 0xff, v59
	v_mad_u64_u32 v[65:66], s[8:9], v36, 20, s[2:3]
	global_load_dwordx4 v[8:11], v[63:64], off
	global_load_dword v61, v[63:64], off offset:16
	global_load_dwordx4 v[0:3], v[65:66], off
	global_load_dword v60, v[65:66], off offset:16
	s_waitcnt lgkmcnt(4)
	v_lshrrev_b32_e32 v64, 16, v22
	s_waitcnt lgkmcnt(3)
	v_lshrrev_b32_e32 v65, 16, v25
	;; [unrolled: 2-line block ×3, first 2 shown]
	v_lshrrev_b32_e32 v66, 16, v16
	s_waitcnt lgkmcnt(0)
	v_lshrrev_b32_e32 v71, 16, v18
	v_lshrrev_b32_e32 v63, 16, v14
	s_movk_i32 s8, 0x3aee
	s_mov_b32 s9, 0xbaee
	v_lshrrev_b32_e32 v74, 16, v26
	v_lshrrev_b32_e32 v75, 16, v17
	;; [unrolled: 1-line block ×6, first 2 shown]
	s_waitcnt vmcnt(0)
	s_barrier
	v_mul_f16_sdwa v78, v64, v4 dst_sel:DWORD dst_unused:UNUSED_PAD src0_sel:DWORD src1_sel:WORD_1
	v_mul_f16_sdwa v79, v22, v4 dst_sel:DWORD dst_unused:UNUSED_PAD src0_sel:DWORD src1_sel:WORD_1
	v_fma_f16 v22, v22, v4, -v78
	v_fma_f16 v64, v64, v4, v79
	v_mul_f16_sdwa v80, v65, v5 dst_sel:DWORD dst_unused:UNUSED_PAD src0_sel:DWORD src1_sel:WORD_1
	v_mul_f16_sdwa v84, v67, v7 dst_sel:DWORD dst_unused:UNUSED_PAD src0_sel:DWORD src1_sel:WORD_1
	;; [unrolled: 1-line block ×4, first 2 shown]
	v_fma_f16 v25, v25, v5, -v80
	v_fma_f16 v20, v20, v7, -v84
	v_fma_f16 v65, v65, v5, v81
	v_mul_f16_sdwa v98, v37, v0 dst_sel:DWORD dst_unused:UNUSED_PAD src0_sel:DWORD src1_sel:WORD_1
	v_mul_f16_sdwa v99, v13, v0 dst_sel:DWORD dst_unused:UNUSED_PAD src0_sel:DWORD src1_sel:WORD_1
	;; [unrolled: 1-line block ×3, first 2 shown]
	v_fma_f16 v78, v13, v0, -v98
	v_mul_f16_sdwa v13, v28, v2 dst_sel:DWORD dst_unused:UNUSED_PAD src0_sel:DWORD src1_sel:WORD_1
	v_fma_f16 v79, v28, v2, -v102
	v_fma_f16 v28, v39, v2, v13
	v_mul_f16_sdwa v13, v40, v3 dst_sel:DWORD dst_unused:UNUSED_PAD src0_sel:DWORD src1_sel:WORD_1
	v_fma_f16 v39, v29, v3, -v13
	v_mul_f16_sdwa v13, v29, v3 dst_sel:DWORD dst_unused:UNUSED_PAD src0_sel:DWORD src1_sel:WORD_1
	v_fma_f16 v29, v40, v3, v13
	v_mul_f16_sdwa v13, v41, v60 dst_sel:DWORD dst_unused:UNUSED_PAD src0_sel:DWORD src1_sel:WORD_1
	v_fma_f16 v40, v30, v60, -v13
	v_mul_f16_sdwa v13, v30, v60 dst_sel:DWORD dst_unused:UNUSED_PAD src0_sel:DWORD src1_sel:WORD_1
	v_fma_f16 v67, v67, v7, v85
	v_fma_f16 v30, v41, v60, v13
	v_add_f16_e32 v41, v25, v20
	v_mul_f16_sdwa v82, v66, v6 dst_sel:DWORD dst_unused:UNUSED_PAD src0_sel:DWORD src1_sel:WORD_1
	v_mul_f16_sdwa v86, v71, v62 dst_sel:DWORD dst_unused:UNUSED_PAD src0_sel:DWORD src1_sel:WORD_1
	v_add_f16_e32 v13, v14, v25
	v_fma_f16 v14, v41, -0.5, v14
	v_sub_f16_e32 v41, v65, v67
	v_mul_f16_sdwa v83, v16, v6 dst_sel:DWORD dst_unused:UNUSED_PAD src0_sel:DWORD src1_sel:WORD_1
	v_mul_f16_sdwa v87, v18, v62 dst_sel:DWORD dst_unused:UNUSED_PAD src0_sel:DWORD src1_sel:WORD_1
	v_fma_f16 v16, v16, v6, -v82
	v_fma_f16 v18, v18, v62, -v86
	v_fma_f16 v80, v41, s8, v14
	v_fma_f16 v14, v41, s9, v14
	v_add_f16_e32 v41, v63, v65
	v_add_f16_e32 v65, v65, v67
	v_fma_f16 v66, v66, v6, v83
	v_fma_f16 v71, v71, v62, v87
	v_add_f16_e32 v13, v13, v20
	v_fma_f16 v63, v65, -0.5, v63
	v_sub_f16_e32 v20, v25, v20
	v_add_f16_e32 v65, v16, v18
	v_fma_f16 v25, v20, s9, v63
	v_fma_f16 v20, v20, s8, v63
	v_add_f16_e32 v63, v22, v16
	v_fma_f16 v22, v65, -0.5, v22
	v_sub_f16_e32 v65, v66, v71
	v_add_f16_e32 v41, v41, v67
	v_fma_f16 v67, v65, s8, v22
	v_fma_f16 v22, v65, s9, v22
	v_add_f16_e32 v65, v64, v66
	v_add_f16_e32 v66, v66, v71
	v_fma_f16 v64, v66, -0.5, v64
	v_sub_f16_e32 v16, v16, v18
	v_add_f16_e32 v63, v63, v18
	v_fma_f16 v18, v16, s9, v64
	v_fma_f16 v16, v16, s8, v64
	v_mul_f16_e32 v64, 0x3aee, v18
	v_mul_f16_sdwa v90, v74, v9 dst_sel:DWORD dst_unused:UNUSED_PAD src0_sel:DWORD src1_sel:WORD_1
	v_mul_f16_sdwa v91, v26, v9 dst_sel:DWORD dst_unused:UNUSED_PAD src0_sel:DWORD src1_sel:WORD_1
	;; [unrolled: 1-line block ×3, first 2 shown]
	v_fma_f16 v64, v67, 0.5, v64
	v_mul_f16_e32 v67, 0xbaee, v67
	v_mul_f16_sdwa v92, v75, v10 dst_sel:DWORD dst_unused:UNUSED_PAD src0_sel:DWORD src1_sel:WORD_1
	v_mul_f16_sdwa v94, v76, v11 dst_sel:DWORD dst_unused:UNUSED_PAD src0_sel:DWORD src1_sel:WORD_1
	;; [unrolled: 1-line block ×3, first 2 shown]
	v_fma_f16 v26, v26, v9, -v90
	v_fma_f16 v74, v74, v9, v91
	v_fma_f16 v76, v76, v11, v95
	v_mul_f16_e32 v66, -0.5, v22
	v_fma_f16 v18, v18, 0.5, v67
	v_mul_f16_sdwa v88, v73, v8 dst_sel:DWORD dst_unused:UNUSED_PAD src0_sel:DWORD src1_sel:WORD_1
	v_mul_f16_sdwa v93, v17, v10 dst_sel:DWORD dst_unused:UNUSED_PAD src0_sel:DWORD src1_sel:WORD_1
	v_mul_f16_sdwa v97, v19, v61 dst_sel:DWORD dst_unused:UNUSED_PAD src0_sel:DWORD src1_sel:WORD_1
	v_fma_f16 v17, v17, v10, -v92
	v_fma_f16 v21, v21, v11, -v94
	;; [unrolled: 1-line block ×3, first 2 shown]
	v_add_f16_e32 v65, v65, v71
	v_add_f16_e32 v71, v13, v63
	v_fma_f16 v66, v16, s8, v66
	v_add_f16_e32 v84, v25, v18
	v_sub_f16_e32 v85, v13, v63
	v_sub_f16_e32 v18, v25, v18
	v_add_f16_e32 v13, v15, v26
	v_add_f16_e32 v25, v74, v76
	v_mul_f16_sdwa v89, v23, v8 dst_sel:DWORD dst_unused:UNUSED_PAD src0_sel:DWORD src1_sel:WORD_1
	v_fma_f16 v23, v23, v8, -v88
	v_fma_f16 v75, v75, v10, v93
	v_fma_f16 v77, v77, v61, v97
	v_add_f16_e32 v82, v14, v66
	v_sub_f16_e32 v86, v14, v66
	v_add_f16_e32 v13, v13, v21
	v_add_f16_e32 v14, v26, v21
	v_fma_f16 v25, v25, -0.5, v72
	v_sub_f16_e32 v21, v26, v21
	v_add_f16_e32 v63, v17, v19
	v_fma_f16 v73, v73, v8, v89
	v_add_f16_e32 v83, v41, v65
	v_sub_f16_e32 v41, v41, v65
	v_fma_f16 v26, v21, s9, v25
	v_fma_f16 v21, v21, s8, v25
	v_add_f16_e32 v25, v23, v17
	v_fma_f16 v23, v63, -0.5, v23
	v_sub_f16_e32 v63, v75, v77
	v_add_f16_e32 v65, v75, v77
	v_add_f16_e32 v81, v80, v64
	v_mul_f16_e32 v16, -0.5, v16
	v_sub_f16_e32 v80, v80, v64
	v_fma_f16 v64, v63, s8, v23
	v_fma_f16 v23, v63, s9, v23
	v_fma_f16 v65, v65, -0.5, v73
	v_sub_f16_e32 v17, v17, v19
	v_mul_f16_sdwa v100, v38, v1 dst_sel:DWORD dst_unused:UNUSED_PAD src0_sel:DWORD src1_sel:WORD_1
	v_fma_f16 v16, v22, s9, v16
	v_fma_f16 v14, v14, -0.5, v15
	v_sub_f16_e32 v15, v74, v76
	v_add_f16_e32 v25, v25, v19
	v_fma_f16 v19, v17, s9, v65
	v_fma_f16 v17, v17, s8, v65
	v_mul_f16_e32 v66, -0.5, v23
	v_mul_f16_sdwa v101, v27, v1 dst_sel:DWORD dst_unused:UNUSED_PAD src0_sel:DWORD src1_sel:WORD_1
	v_fma_f16 v27, v27, v1, -v100
	v_add_f16_e32 v22, v20, v16
	v_sub_f16_e32 v16, v20, v16
	v_fma_f16 v20, v15, s8, v14
	v_fma_f16 v14, v15, s9, v14
	v_add_f16_e32 v63, v73, v75
	v_fma_f16 v66, v17, s8, v66
	v_fma_f16 v38, v38, v1, v101
	v_add_f16_e32 v15, v72, v74
	v_add_f16_e32 v63, v63, v77
	v_mul_f16_e32 v65, 0x3aee, v19
	v_add_f16_e32 v74, v14, v66
	v_mul_f16_e32 v17, -0.5, v17
	v_sub_f16_e32 v77, v14, v66
	v_add_f16_e32 v14, v27, v39
	v_add_f16_e32 v72, v13, v25
	v_fma_f16 v65, v64, 0.5, v65
	v_mul_f16_e32 v64, 0xbaee, v64
	v_fma_f16 v17, v23, s9, v17
	v_sub_f16_e32 v25, v13, v25
	v_add_f16_e32 v13, v12, v27
	v_fma_f16 v12, v14, -0.5, v12
	v_sub_f16_e32 v14, v38, v29
	v_add_f16_e32 v15, v15, v76
	v_fma_f16 v19, v19, 0.5, v64
	v_add_f16_e32 v23, v21, v17
	v_sub_f16_e32 v17, v21, v17
	v_fma_f16 v21, v14, s8, v12
	v_fma_f16 v64, v14, s9, v12
	v_add_f16_e32 v14, v38, v29
	v_add_f16_e32 v75, v15, v63
	v_sub_f16_e32 v87, v15, v63
	v_fma_f16 v14, v14, -0.5, v35
	v_sub_f16_e32 v15, v27, v39
	v_add_f16_e32 v12, v35, v38
	v_fma_f16 v35, v15, s9, v14
	v_fma_f16 v38, v15, s8, v14
	v_add_f16_e32 v15, v79, v40
	v_add_f16_e32 v76, v26, v19
	v_sub_f16_e32 v19, v26, v19
	v_fma_f16 v15, v15, -0.5, v78
	v_sub_f16_e32 v26, v28, v30
	v_fma_f16 v37, v37, v0, v99
	v_add_f16_e32 v13, v13, v39
	v_add_f16_e32 v12, v12, v29
	v_fma_f16 v29, v26, s8, v15
	v_fma_f16 v39, v26, s9, v15
	v_add_f16_e32 v26, v28, v30
	v_fma_f16 v26, v26, -0.5, v37
	v_sub_f16_e32 v27, v79, v40
	v_add_f16_e32 v15, v37, v28
	v_fma_f16 v28, v27, s9, v26
	v_add_f16_e32 v15, v15, v30
	v_fma_f16 v30, v27, s8, v26
	v_mul_f16_e32 v26, 0x3aee, v28
	v_fma_f16 v37, v29, 0.5, v26
	v_mul_f16_e32 v29, 0xbaee, v29
	v_add_f16_e32 v73, v20, v65
	v_sub_f16_e32 v20, v20, v65
	v_add_f16_e32 v26, v21, v37
	v_fma_f16 v65, v28, 0.5, v29
	v_sub_f16_e32 v29, v21, v37
	v_mul_u32_u24_e32 v21, 0x4e, v42
	v_add_u32_e32 v21, v21, v68
	v_lshl_add_u32 v68, v21, 2, v58
	v_pack_b32_f16 v18, v80, v18
	v_pack_b32_f16 v16, v86, v16
	ds_write2_b32 v68, v18, v16 offset0:52 offset1:65
	v_mul_u32_u24_e32 v16, 0x4e, v69
	v_add_f16_e32 v63, v35, v65
	v_sub_f16_e32 v67, v35, v65
	v_pack_b32_f16 v21, v71, v83
	v_pack_b32_f16 v35, v81, v84
	v_add_u32_e32 v16, v16, v70
	v_add_f16_e32 v14, v78, v79
	v_mul_f16_e32 v27, -0.5, v39
	v_mul_f16_e32 v28, -0.5, v30
	ds_write2_b32 v68, v21, v35 offset1:13
	v_pack_b32_f16 v21, v82, v22
	v_pack_b32_f16 v22, v85, v41
	v_lshl_add_u32 v69, v16, 2, v58
	v_pack_b32_f16 v16, v72, v75
	v_pack_b32_f16 v18, v73, v76
	v_add_f16_e32 v14, v14, v40
	v_fma_f16 v40, v30, s8, v27
	v_fma_f16 v39, v39, s9, v28
	ds_write2_b32 v68, v21, v22 offset0:26 offset1:39
	ds_write2_b32 v69, v16, v18 offset1:13
	v_pack_b32_f16 v16, v74, v23
	v_pack_b32_f16 v18, v25, v87
	v_add_f16_e32 v27, v64, v40
	v_add_f16_e32 v66, v38, v39
	v_sub_f16_e32 v28, v13, v14
	v_sub_f16_e32 v30, v64, v40
	;; [unrolled: 1-line block ×4, first 2 shown]
	ds_write2_b32 v69, v16, v18 offset0:26 offset1:39
	v_pack_b32_f16 v16, v20, v19
	v_pack_b32_f16 v17, v77, v17
	ds_write2_b32 v69, v16, v17 offset0:52 offset1:65
	s_and_saveexec_b64 s[8:9], vcc
	s_cbranch_execz .LBB0_5
; %bb.4:
	v_add_f16_e32 v12, v12, v15
	v_add_f16_e32 v13, v13, v14
	v_lshl_add_u32 v14, v36, 2, v58
	s_mov_b32 s12, 0x5040100
	v_pack_b32_f16 v12, v13, v12
	v_perm_b32 v13, v63, v26, s12
	v_add_u32_e32 v14, 0xc00, v14
	ds_write2_b32 v14, v12, v13 offset0:168 offset1:181
	v_perm_b32 v12, v66, v27, s12
	v_perm_b32 v13, v64, v28, s12
	ds_write2_b32 v14, v12, v13 offset0:194 offset1:207
	v_perm_b32 v12, v67, v29, s12
	v_perm_b32 v13, v65, v30, s12
	ds_write2_b32 v14, v12, v13 offset0:220 offset1:233
.LBB0_5:
	s_or_b64 exec, exec, s[8:9]
	v_mad_u64_u32 v[35:36], s[2:3], v55, 48, s[2:3]
	s_waitcnt lgkmcnt(0)
	s_barrier
	global_load_dwordx4 v[12:15], v[35:36], off offset:260
	global_load_dwordx4 v[16:19], v[35:36], off offset:276
	;; [unrolled: 1-line block ×3, first 2 shown]
	ds_read2_b32 v[38:39], v43 offset1:78
	ds_read2_b32 v[40:41], v43 offset0:156 offset1:234
	v_add_u32_e32 v37, 0x400, v43
	v_add_u32_e32 v36, 0x600, v43
	;; [unrolled: 1-line block ×3, first 2 shown]
	s_waitcnt lgkmcnt(1)
	v_lshrrev_b32_e32 v42, 16, v39
	v_add_u32_e32 v70, 0xc00, v43
	ds_read_b32 v25, v43 offset:3744
	ds_read2_b32 v[71:72], v37 offset0:56 offset1:134
	ds_read2_b32 v[73:74], v36 offset0:84 offset1:162
	;; [unrolled: 1-line block ×4, first 2 shown]
	s_waitcnt lgkmcnt(5)
	v_lshrrev_b32_e32 v79, 16, v40
	v_lshrrev_b32_e32 v80, 16, v41
	s_waitcnt lgkmcnt(3)
	v_lshrrev_b32_e32 v82, 16, v71
	v_lshrrev_b32_e32 v83, 16, v72
	s_waitcnt lgkmcnt(2)
	v_lshrrev_b32_e32 v84, 16, v73
	v_lshrrev_b32_e32 v85, 16, v74
	s_waitcnt lgkmcnt(1)
	v_lshrrev_b32_e32 v86, 16, v75
	v_lshrrev_b32_e32 v87, 16, v76
	s_waitcnt lgkmcnt(0)
	v_lshrrev_b32_e32 v88, 16, v77
	v_lshrrev_b32_e32 v89, 16, v78
	v_lshrrev_b32_e32 v81, 16, v25
	s_movk_i32 s8, 0x3b15
	s_movk_i32 s3, 0x388b
	;; [unrolled: 1-line block ×3, first 2 shown]
	s_mov_b32 s9, 0xb5ac
	s_mov_b32 s12, 0xb9fd
	;; [unrolled: 1-line block ×3, first 2 shown]
	s_add_u32 s0, s0, 0xfd8
	s_addc_u32 s1, s1, 0
	s_mov_b32 s23, 0xb770
	s_mov_b32 s20, 0xba95
	s_movk_i32 s18, 0x3a95
	s_mov_b32 s25, 0xbbf1
	s_mov_b32 s17, 0xb3a8
	s_movk_i32 s21, 0x3b7b
	s_movk_i32 s15, 0x3bf1
	;; [unrolled: 1-line block ×5, first 2 shown]
	s_waitcnt vmcnt(2)
	v_mul_f16_sdwa v90, v42, v12 dst_sel:DWORD dst_unused:UNUSED_PAD src0_sel:DWORD src1_sel:WORD_1
	v_mul_f16_sdwa v91, v39, v12 dst_sel:DWORD dst_unused:UNUSED_PAD src0_sel:DWORD src1_sel:WORD_1
	;; [unrolled: 1-line block ×3, first 2 shown]
	v_fma_f16 v39, v39, v12, -v90
	v_mul_f16_sdwa v93, v40, v13 dst_sel:DWORD dst_unused:UNUSED_PAD src0_sel:DWORD src1_sel:WORD_1
	v_mul_f16_sdwa v94, v80, v14 dst_sel:DWORD dst_unused:UNUSED_PAD src0_sel:DWORD src1_sel:WORD_1
	v_fma_f16 v40, v40, v13, -v92
	v_add_f16_e32 v90, v38, v39
	v_mul_f16_sdwa v95, v41, v14 dst_sel:DWORD dst_unused:UNUSED_PAD src0_sel:DWORD src1_sel:WORD_1
	v_mul_f16_sdwa v96, v82, v15 dst_sel:DWORD dst_unused:UNUSED_PAD src0_sel:DWORD src1_sel:WORD_1
	v_fma_f16 v42, v42, v12, v91
	v_fma_f16 v41, v41, v14, -v94
	v_add_f16_e32 v90, v90, v40
	v_mul_f16_sdwa v97, v71, v15 dst_sel:DWORD dst_unused:UNUSED_PAD src0_sel:DWORD src1_sel:WORD_1
	s_waitcnt vmcnt(1)
	v_mul_f16_sdwa v98, v83, v16 dst_sel:DWORD dst_unused:UNUSED_PAD src0_sel:DWORD src1_sel:WORD_1
	v_fma_f16 v79, v79, v13, v93
	v_fma_f16 v71, v71, v15, -v96
	v_add_f16_sdwa v91, v38, v42 dst_sel:DWORD dst_unused:UNUSED_PAD src0_sel:WORD_1 src1_sel:DWORD
	v_add_f16_e32 v90, v90, v41
	v_mul_f16_sdwa v99, v72, v16 dst_sel:DWORD dst_unused:UNUSED_PAD src0_sel:DWORD src1_sel:WORD_1
	v_mul_f16_sdwa v100, v84, v17 dst_sel:DWORD dst_unused:UNUSED_PAD src0_sel:DWORD src1_sel:WORD_1
	v_fma_f16 v80, v80, v14, v95
	v_fma_f16 v72, v72, v16, -v98
	v_add_f16_e32 v91, v91, v79
	v_add_f16_e32 v90, v90, v71
	v_mul_f16_sdwa v101, v73, v17 dst_sel:DWORD dst_unused:UNUSED_PAD src0_sel:DWORD src1_sel:WORD_1
	v_mul_f16_sdwa v102, v85, v18 dst_sel:DWORD dst_unused:UNUSED_PAD src0_sel:DWORD src1_sel:WORD_1
	v_fma_f16 v82, v82, v15, v97
	v_fma_f16 v73, v73, v17, -v100
	v_add_f16_e32 v91, v91, v80
	;; [unrolled: 6-line block ×3, first 2 shown]
	v_add_f16_e32 v90, v90, v73
	v_mul_f16_sdwa v105, v75, v19 dst_sel:DWORD dst_unused:UNUSED_PAD src0_sel:DWORD src1_sel:WORD_1
	s_waitcnt vmcnt(0)
	v_mul_f16_sdwa v106, v87, v20 dst_sel:DWORD dst_unused:UNUSED_PAD src0_sel:DWORD src1_sel:WORD_1
	v_fma_f16 v84, v84, v17, v101
	v_fma_f16 v75, v75, v19, -v104
	v_add_f16_e32 v91, v91, v83
	v_add_f16_e32 v90, v90, v74
	v_mul_f16_sdwa v107, v76, v20 dst_sel:DWORD dst_unused:UNUSED_PAD src0_sel:DWORD src1_sel:WORD_1
	v_mul_f16_sdwa v108, v88, v21 dst_sel:DWORD dst_unused:UNUSED_PAD src0_sel:DWORD src1_sel:WORD_1
	v_fma_f16 v85, v85, v18, v103
	v_fma_f16 v76, v76, v20, -v106
	v_add_f16_e32 v91, v91, v84
	v_add_f16_e32 v90, v90, v75
	v_mul_f16_sdwa v109, v77, v21 dst_sel:DWORD dst_unused:UNUSED_PAD src0_sel:DWORD src1_sel:WORD_1
	;; [unrolled: 6-line block ×3, first 2 shown]
	v_mul_f16_sdwa v112, v81, v23 dst_sel:DWORD dst_unused:UNUSED_PAD src0_sel:DWORD src1_sel:WORD_1
	v_mul_f16_sdwa v113, v25, v23 dst_sel:DWORD dst_unused:UNUSED_PAD src0_sel:DWORD src1_sel:WORD_1
	v_fma_f16 v87, v87, v20, v107
	v_fma_f16 v78, v78, v22, -v110
	v_add_f16_e32 v91, v91, v86
	v_add_f16_e32 v90, v90, v77
	v_fma_f16 v88, v88, v21, v109
	v_fma_f16 v25, v25, v23, -v112
	v_fma_f16 v81, v81, v23, v113
	v_add_f16_e32 v91, v91, v87
	v_add_f16_e32 v90, v90, v78
	v_fma_f16 v89, v89, v22, v111
	v_add_f16_e32 v91, v91, v88
	v_add_f16_e32 v90, v90, v25
	;; [unrolled: 1-line block ×3, first 2 shown]
	v_sub_f16_e32 v25, v39, v25
	v_sub_f16_e32 v39, v42, v81
	v_add_f16_e32 v91, v91, v89
	v_add_f16_e32 v93, v42, v81
	v_mul_f16_e32 v42, 0xb770, v39
	v_mul_f16_e32 v94, 0xb770, v25
	;; [unrolled: 1-line block ×12, first 2 shown]
	v_add_f16_e32 v91, v91, v81
	v_fma_f16 v81, v92, s8, -v42
	v_fma_f16 v95, v93, s8, v94
	v_fma_f16 v42, v92, s8, v42
	v_fma_f16 v94, v93, s8, -v94
	v_fma_f16 v97, v92, s3, -v96
	v_fma_f16 v99, v93, s3, v98
	v_fma_f16 v96, v92, s3, v96
	v_fma_f16 v98, v93, s3, -v98
	;; [unrolled: 4-line block ×6, first 2 shown]
	v_add_f16_e32 v81, v38, v81
	v_add_f16_sdwa v95, v38, v95 dst_sel:DWORD dst_unused:UNUSED_PAD src0_sel:WORD_1 src1_sel:DWORD
	v_add_f16_e32 v42, v38, v42
	v_add_f16_sdwa v94, v38, v94 dst_sel:DWORD dst_unused:UNUSED_PAD src0_sel:WORD_1 src1_sel:DWORD
	;; [unrolled: 2-line block ×12, first 2 shown]
	v_add_f16_e32 v38, v40, v78
	v_sub_f16_e32 v40, v40, v78
	v_sub_f16_e32 v78, v79, v89
	v_add_f16_e32 v92, v79, v89
	v_mul_f16_e32 v79, 0xba95, v78
	v_fma_f16 v89, v38, s3, -v79
	v_add_f16_e32 v81, v89, v81
	v_mul_f16_e32 v89, 0xba95, v40
	v_fma_f16 v79, v38, s3, v79
	v_fma_f16 v93, v92, s3, v89
	v_add_f16_e32 v42, v79, v42
	v_fma_f16 v79, v92, s3, -v89
	v_mul_f16_e32 v89, 0xbb7b, v78
	v_add_f16_e32 v93, v93, v95
	v_add_f16_e32 v79, v79, v94
	v_fma_f16 v94, v38, s9, -v89
	v_mul_f16_e32 v95, 0xbb7b, v40
	v_fma_f16 v89, v38, s9, v89
	v_add_f16_e32 v94, v94, v97
	v_fma_f16 v97, v92, s9, v95
	v_add_f16_e32 v89, v89, v96
	v_fma_f16 v95, v92, s9, -v95
	v_mul_f16_e32 v96, 0xb3a8, v78
	v_add_f16_e32 v97, v97, v99
	v_add_f16_e32 v95, v95, v98
	v_fma_f16 v98, v38, s13, -v96
	v_mul_f16_e32 v99, 0xb3a8, v40
	v_fma_f16 v96, v38, s13, v96
	v_add_f16_e32 v98, v98, v101
	;; [unrolled: 10-line block ×3, first 2 shown]
	v_fma_f16 v105, v92, s12, v103
	v_add_f16_e32 v100, v100, v104
	v_fma_f16 v103, v92, s12, -v103
	v_mul_f16_e32 v104, 0x3bf1, v78
	v_add_f16_e32 v103, v103, v106
	v_fma_f16 v106, v38, s2, -v104
	v_fma_f16 v104, v38, s2, v104
	v_mul_f16_e32 v78, 0x3770, v78
	v_add_f16_e32 v105, v105, v107
	v_mul_f16_e32 v107, 0x3bf1, v40
	v_add_f16_e32 v104, v104, v108
	v_fma_f16 v108, v38, s8, -v78
	v_mul_f16_e32 v40, 0x3770, v40
	v_fma_f16 v38, v38, s8, v78
	v_add_f16_e32 v38, v38, v39
	v_fma_f16 v39, v92, s8, -v40
	v_add_f16_e32 v25, v39, v25
	v_add_f16_e32 v39, v41, v77
	v_sub_f16_e32 v41, v41, v77
	v_sub_f16_e32 v77, v80, v88
	v_add_f16_e32 v106, v106, v109
	v_fma_f16 v109, v92, s2, v107
	v_fma_f16 v107, v92, s2, -v107
	v_mul_f16_e32 v78, 0xbbf1, v77
	v_add_f16_e32 v107, v107, v110
	v_fma_f16 v110, v92, s8, v40
	v_add_f16_e32 v40, v80, v88
	v_fma_f16 v80, v39, s2, -v78
	v_add_f16_e32 v80, v80, v81
	v_mul_f16_e32 v81, 0xbbf1, v41
	v_fma_f16 v78, v39, s2, v78
	v_add_f16_e32 v42, v78, v42
	v_fma_f16 v78, v40, s2, -v81
	v_add_f16_e32 v78, v78, v79
	v_mul_f16_e32 v79, 0xb3a8, v77
	v_fma_f16 v88, v40, s2, v81
	v_fma_f16 v81, v39, s13, -v79
	v_mul_f16_e32 v92, 0xb3a8, v41
	v_fma_f16 v79, v39, s13, v79
	v_add_f16_e32 v88, v88, v93
	v_fma_f16 v93, v40, s13, v92
	v_add_f16_e32 v79, v79, v89
	v_fma_f16 v89, v40, s13, -v92
	v_mul_f16_e32 v92, 0x3b7b, v77
	v_add_f16_e32 v81, v81, v94
	v_fma_f16 v94, v39, s9, -v92
	v_fma_f16 v92, v39, s9, v92
	v_add_f16_e32 v89, v89, v95
	v_mul_f16_e32 v95, 0x3b7b, v41
	v_add_f16_e32 v92, v92, v96
	v_mul_f16_e32 v96, 0x3770, v77
	v_add_f16_e32 v93, v93, v97
	v_add_f16_e32 v94, v94, v98
	v_fma_f16 v97, v40, s9, v95
	v_fma_f16 v95, v40, s9, -v95
	v_fma_f16 v98, v39, s8, -v96
	v_fma_f16 v96, v39, s8, v96
	v_add_f16_e32 v95, v95, v99
	v_mul_f16_e32 v99, 0x3770, v41
	v_add_f16_e32 v96, v96, v100
	v_mul_f16_e32 v100, 0xba95, v77
	v_add_f16_e32 v97, v97, v101
	v_add_f16_e32 v98, v98, v102
	v_fma_f16 v101, v40, s8, v99
	v_fma_f16 v99, v40, s8, -v99
	v_fma_f16 v102, v39, s3, -v100
	v_fma_f16 v100, v39, s3, v100
	v_mul_f16_e32 v77, 0xb94e, v77
	v_add_f16_e32 v99, v99, v103
	v_mul_f16_e32 v103, 0xba95, v41
	v_add_f16_e32 v100, v100, v104
	v_fma_f16 v104, v39, s12, -v77
	v_mul_f16_e32 v41, 0xb94e, v41
	v_fma_f16 v39, v39, s12, v77
	v_add_f16_e32 v38, v39, v38
	v_fma_f16 v39, v40, s12, -v41
	v_add_f16_e32 v102, v102, v106
	v_fma_f16 v106, v40, s12, v41
	v_add_f16_e32 v25, v39, v25
	v_add_f16_e32 v39, v71, v76
	v_sub_f16_e32 v41, v71, v76
	v_sub_f16_e32 v71, v82, v87
	v_mul_f16_e32 v76, 0xbb7b, v71
	v_fma_f16 v77, v39, s9, -v76
	v_add_f16_e32 v101, v101, v105
	v_fma_f16 v105, v40, s3, v103
	v_fma_f16 v103, v40, s3, -v103
	v_add_f16_e32 v40, v82, v87
	v_add_f16_e32 v77, v77, v80
	v_mul_f16_e32 v80, 0xbb7b, v41
	v_fma_f16 v76, v39, s9, v76
	v_add_f16_e32 v42, v76, v42
	v_fma_f16 v76, v40, s9, -v80
	v_add_f16_e32 v76, v76, v78
	v_mul_f16_e32 v78, 0x394e, v71
	v_fma_f16 v82, v40, s9, v80
	v_fma_f16 v80, v39, s12, -v78
	v_add_f16_e32 v80, v80, v81
	v_mul_f16_e32 v81, 0x394e, v41
	v_fma_f16 v78, v39, s12, v78
	v_fma_f16 v87, v40, s12, v81
	v_add_f16_e32 v78, v78, v79
	v_fma_f16 v79, v40, s12, -v81
	v_mul_f16_e32 v81, 0x3770, v71
	v_add_f16_e32 v82, v82, v88
	v_fma_f16 v88, v39, s8, -v81
	v_fma_f16 v81, v39, s8, v81
	v_add_f16_e32 v79, v79, v89
	v_mul_f16_e32 v89, 0x3770, v41
	v_add_f16_e32 v81, v81, v92
	v_mul_f16_e32 v92, 0xbbf1, v71
	v_add_f16_e32 v87, v87, v93
	v_add_f16_e32 v88, v88, v94
	v_fma_f16 v93, v40, s8, v89
	v_fma_f16 v89, v40, s8, -v89
	v_fma_f16 v94, v39, s2, -v92
	v_fma_f16 v92, v39, s2, v92
	v_add_f16_e32 v89, v89, v95
	v_mul_f16_e32 v95, 0xbbf1, v41
	v_add_f16_e32 v92, v92, v96
	v_mul_f16_e32 v96, 0x33a8, v71
	v_add_f16_e32 v93, v93, v97
	v_add_f16_e32 v94, v94, v98
	v_fma_f16 v97, v40, s2, v95
	v_fma_f16 v95, v40, s2, -v95
	v_fma_f16 v98, v39, s13, -v96
	v_fma_f16 v96, v39, s13, v96
	v_mul_f16_e32 v71, 0x3a95, v71
	v_add_f16_e32 v95, v95, v99
	v_mul_f16_e32 v99, 0x33a8, v41
	v_add_f16_e32 v96, v96, v100
	v_fma_f16 v100, v39, s3, -v71
	v_mul_f16_e32 v41, 0x3a95, v41
	v_fma_f16 v39, v39, s3, v71
	v_add_f16_e32 v38, v39, v38
	v_fma_f16 v39, v40, s3, -v41
	v_sub_f16_e32 v71, v83, v86
	v_add_f16_e32 v98, v98, v102
	v_fma_f16 v102, v40, s3, v41
	v_add_f16_e32 v25, v39, v25
	v_add_f16_e32 v39, v72, v75
	v_sub_f16_e32 v41, v72, v75
	v_mul_f16_e32 v72, 0xb94e, v71
	v_fma_f16 v75, v39, s12, -v72
	v_add_f16_e32 v97, v97, v101
	v_fma_f16 v101, v40, s13, v99
	v_fma_f16 v99, v40, s13, -v99
	v_add_f16_e32 v40, v83, v86
	v_add_f16_e32 v75, v75, v77
	v_mul_f16_e32 v77, 0xb94e, v41
	v_fma_f16 v72, v39, s12, v72
	v_add_f16_e32 v42, v72, v42
	v_fma_f16 v72, v40, s12, -v77
	v_add_f16_e32 v72, v72, v76
	v_mul_f16_e32 v76, 0x3bf1, v71
	v_fma_f16 v83, v40, s12, v77
	v_fma_f16 v77, v39, s2, -v76
	v_add_f16_e32 v77, v77, v80
	v_mul_f16_e32 v80, 0x3bf1, v41
	v_fma_f16 v76, v39, s2, v76
	v_add_f16_e32 v76, v76, v78
	v_fma_f16 v78, v40, s2, -v80
	v_add_f16_e32 v78, v78, v79
	v_mul_f16_e32 v79, 0xba95, v71
	v_add_f16_e32 v82, v83, v82
	v_fma_f16 v83, v40, s2, v80
	v_fma_f16 v80, v39, s3, -v79
	v_mul_f16_e32 v86, 0xba95, v41
	v_fma_f16 v79, v39, s3, v79
	v_add_f16_e32 v83, v83, v87
	v_fma_f16 v87, v40, s3, v86
	v_add_f16_e32 v79, v79, v81
	v_fma_f16 v81, v40, s3, -v86
	v_mul_f16_e32 v86, 0x33a8, v71
	v_add_f16_e32 v80, v80, v88
	v_fma_f16 v88, v39, s13, -v86
	v_fma_f16 v86, v39, s13, v86
	v_add_f16_e32 v81, v81, v89
	v_mul_f16_e32 v89, 0x33a8, v41
	v_add_f16_e32 v86, v86, v92
	v_mul_f16_e32 v92, 0x3770, v71
	v_add_f16_e32 v87, v87, v93
	v_add_f16_e32 v88, v88, v94
	v_fma_f16 v93, v40, s13, v89
	v_fma_f16 v89, v40, s13, -v89
	v_fma_f16 v94, v39, s8, -v92
	v_fma_f16 v92, v39, s8, v92
	v_mul_f16_e32 v71, 0xbb7b, v71
	v_add_f16_e32 v89, v89, v95
	v_mul_f16_e32 v95, 0x3770, v41
	v_add_f16_e32 v92, v92, v96
	v_fma_f16 v96, v39, s9, -v71
	v_mul_f16_e32 v41, 0xbb7b, v41
	v_fma_f16 v39, v39, s9, v71
	v_add_f16_e32 v38, v39, v38
	v_fma_f16 v39, v40, s9, -v41
	v_sub_f16_e32 v71, v84, v85
	v_add_f16_e32 v94, v94, v98
	v_fma_f16 v98, v40, s9, v41
	v_add_f16_e32 v25, v39, v25
	v_add_f16_e32 v39, v73, v74
	v_sub_f16_e32 v41, v73, v74
	v_mul_f16_e32 v73, 0xb3a8, v71
	v_fma_f16 v74, v39, s13, -v73
	v_add_f16_e32 v93, v93, v97
	v_fma_f16 v97, v40, s8, v95
	v_fma_f16 v95, v40, s8, -v95
	v_add_f16_e32 v40, v84, v85
	v_add_f16_e32 v74, v74, v75
	v_mul_f16_e32 v75, 0xb3a8, v41
	v_fma_f16 v73, v39, s13, v73
	v_add_f16_e32 v42, v73, v42
	v_fma_f16 v73, v40, s13, -v75
	v_add_f16_e32 v72, v73, v72
	v_mul_f16_e32 v73, 0x3770, v71
	v_fma_f16 v84, v40, s13, v75
	v_fma_f16 v75, v39, s8, -v73
	v_add_f16_e32 v75, v75, v77
	v_mul_f16_e32 v77, 0x3770, v41
	v_fma_f16 v73, v39, s8, v73
	v_add_f16_e32 v82, v84, v82
	v_fma_f16 v84, v40, s8, v77
	v_add_f16_e32 v73, v73, v76
	v_fma_f16 v76, v40, s8, -v77
	v_mul_f16_e32 v77, 0xb94e, v71
	v_add_f16_e32 v76, v76, v78
	v_fma_f16 v78, v39, s12, -v77
	v_add_f16_e32 v78, v78, v80
	v_mul_f16_e32 v80, 0xb94e, v41
	v_fma_f16 v77, v39, s12, v77
	v_add_f16_e32 v83, v84, v83
	v_fma_f16 v84, v40, s12, v80
	v_add_f16_e32 v77, v77, v79
	v_fma_f16 v79, v40, s12, -v80
	v_mul_f16_e32 v80, 0x3a95, v71
	v_add_f16_e32 v79, v79, v81
	v_fma_f16 v81, v39, s3, -v80
	v_fma_f16 v80, v39, s3, v80
	v_mul_f16_e32 v85, 0x3a95, v41
	v_add_f16_e32 v80, v80, v86
	v_mul_f16_e32 v86, 0xbb7b, v71
	v_add_f16_e32 v109, v109, v111
	v_add_f16_e32 v84, v84, v87
	;; [unrolled: 1-line block ×3, first 2 shown]
	v_fma_f16 v87, v40, s3, v85
	v_fma_f16 v85, v40, s3, -v85
	v_fma_f16 v88, v39, s9, -v86
	v_fma_f16 v86, v39, s9, v86
	v_mul_f16_e32 v71, 0x3bf1, v71
	v_add_f16_e32 v108, v108, v112
	v_add_f16_e32 v110, v110, v113
	;; [unrolled: 1-line block ×4, first 2 shown]
	v_mul_f16_e32 v89, 0xbb7b, v41
	v_add_f16_e32 v86, v86, v92
	v_fma_f16 v92, v39, s2, -v71
	v_mul_f16_e32 v41, 0x3bf1, v41
	v_fma_f16 v39, v39, s2, v71
	v_add_f16_e32 v104, v104, v108
	v_add_f16_e32 v106, v106, v110
	v_add_f16_e32 v101, v101, v105
	v_add_f16_e32 v38, v39, v38
	v_fma_f16 v39, v40, s2, -v41
	v_add_f16_e32 v103, v103, v107
	v_add_f16_e32 v100, v100, v104
	;; [unrolled: 1-line block ×6, first 2 shown]
	v_fma_f16 v93, v40, s9, v89
	v_fma_f16 v89, v40, s9, -v89
	v_fma_f16 v94, v40, s2, v41
	v_add_f16_e32 v25, v39, v25
	v_pack_b32_f16 v39, v90, v91
	v_pack_b32_f16 v40, v74, v82
	v_add_f16_e32 v99, v99, v103
	v_add_f16_e32 v96, v96, v100
	;; [unrolled: 1-line block ×4, first 2 shown]
	ds_write2_b32 v43, v39, v40 offset1:78
	v_pack_b32_f16 v39, v75, v83
	v_pack_b32_f16 v40, v78, v84
	v_add_f16_e32 v95, v95, v99
	v_add_f16_e32 v92, v92, v96
	;; [unrolled: 1-line block ×3, first 2 shown]
	ds_write2_b32 v43, v39, v40 offset0:156 offset1:234
	v_pack_b32_f16 v39, v81, v87
	v_pack_b32_f16 v40, v88, v93
	v_add_f16_e32 v89, v89, v95
	ds_write2_b32 v37, v39, v40 offset0:56 offset1:134
	v_pack_b32_f16 v39, v92, v94
	v_pack_b32_f16 v25, v38, v25
	ds_write2_b32 v36, v39, v25 offset0:84 offset1:162
	v_pack_b32_f16 v25, v86, v89
	v_pack_b32_f16 v38, v80, v85
	;; [unrolled: 3-line block ×3, first 2 shown]
	ds_write2_b32 v70, v25, v38 offset0:12 offset1:90
	v_pack_b32_f16 v25, v42, v72
	ds_write_b32 v43, v25 offset:3744
	s_waitcnt lgkmcnt(0)
	s_barrier
	global_load_dword v25, v[31:32], off offset:4056
	global_load_dword v40, v33, s[0:1] offset:312
	global_load_dword v41, v33, s[0:1] offset:624
	;; [unrolled: 1-line block ×11, first 2 shown]
	ds_read2_b32 v[31:32], v43 offset1:78
	global_load_dword v33, v33, s[0:1] offset:3744
	s_mov_b32 s0, 0xffff
	s_waitcnt lgkmcnt(0)
	v_lshrrev_b32_e32 v38, 16, v31
	s_waitcnt vmcnt(12)
	v_mul_f16_sdwa v39, v38, v25 dst_sel:DWORD dst_unused:UNUSED_PAD src0_sel:DWORD src1_sel:WORD_1
	v_fma_f16 v39, v31, v25, -v39
	v_mul_f16_sdwa v31, v31, v25 dst_sel:DWORD dst_unused:UNUSED_PAD src0_sel:DWORD src1_sel:WORD_1
	v_fma_f16 v25, v38, v25, v31
	v_lshrrev_b32_e32 v31, 16, v32
	s_waitcnt vmcnt(11)
	v_mul_f16_sdwa v38, v31, v40 dst_sel:DWORD dst_unused:UNUSED_PAD src0_sel:DWORD src1_sel:WORD_1
	v_pack_b32_f16 v25, v39, v25
	v_fma_f16 v79, v32, v40, -v38
	ds_read2_b32 v[38:39], v43 offset0:156 offset1:234
	v_mul_f16_sdwa v32, v32, v40 dst_sel:DWORD dst_unused:UNUSED_PAD src0_sel:DWORD src1_sel:WORD_1
	v_fma_f16 v31, v31, v40, v32
	v_pack_b32_f16 v31, v79, v31
	ds_write2_b32 v43, v25, v31 offset1:78
	s_waitcnt lgkmcnt(1)
	v_lshrrev_b32_e32 v25, 16, v38
	s_waitcnt vmcnt(10)
	v_mul_f16_sdwa v31, v25, v41 dst_sel:DWORD dst_unused:UNUSED_PAD src0_sel:DWORD src1_sel:WORD_1
	v_mul_f16_sdwa v32, v38, v41 dst_sel:DWORD dst_unused:UNUSED_PAD src0_sel:DWORD src1_sel:WORD_1
	v_fma_f16 v31, v38, v41, -v31
	v_fma_f16 v25, v25, v41, v32
	v_lshrrev_b32_e32 v38, 16, v39
	v_pack_b32_f16 v25, v31, v25
	s_waitcnt vmcnt(9)
	v_mul_f16_sdwa v31, v38, v42 dst_sel:DWORD dst_unused:UNUSED_PAD src0_sel:DWORD src1_sel:WORD_1
	v_fma_f16 v40, v39, v42, -v31
	ds_read2_b32 v[31:32], v37 offset0:56 offset1:134
	v_mul_f16_sdwa v39, v39, v42 dst_sel:DWORD dst_unused:UNUSED_PAD src0_sel:DWORD src1_sel:WORD_1
	v_fma_f16 v38, v38, v42, v39
	v_pack_b32_f16 v38, v40, v38
	ds_write2_b32 v43, v25, v38 offset0:156 offset1:234
	s_waitcnt lgkmcnt(1)
	v_lshrrev_b32_e32 v25, 16, v31
	s_waitcnt vmcnt(8)
	v_mul_f16_sdwa v38, v25, v71 dst_sel:DWORD dst_unused:UNUSED_PAD src0_sel:DWORD src1_sel:WORD_1
	v_fma_f16 v38, v31, v71, -v38
	v_mul_f16_sdwa v31, v31, v71 dst_sel:DWORD dst_unused:UNUSED_PAD src0_sel:DWORD src1_sel:WORD_1
	v_fma_f16 v25, v25, v71, v31
	v_lshrrev_b32_e32 v31, 16, v32
	v_pack_b32_f16 v25, v38, v25
	s_waitcnt vmcnt(7)
	v_mul_f16_sdwa v38, v31, v72 dst_sel:DWORD dst_unused:UNUSED_PAD src0_sel:DWORD src1_sel:WORD_1
	v_fma_f16 v40, v32, v72, -v38
	ds_read2_b32 v[38:39], v36 offset0:84 offset1:162
	v_mul_f16_sdwa v32, v32, v72 dst_sel:DWORD dst_unused:UNUSED_PAD src0_sel:DWORD src1_sel:WORD_1
	v_fma_f16 v31, v31, v72, v32
	v_pack_b32_f16 v31, v40, v31
	ds_write2_b32 v37, v25, v31 offset0:56 offset1:134
	s_waitcnt lgkmcnt(1)
	v_lshrrev_b32_e32 v25, 16, v38
	s_waitcnt vmcnt(6)
	v_mul_f16_sdwa v31, v25, v73 dst_sel:DWORD dst_unused:UNUSED_PAD src0_sel:DWORD src1_sel:WORD_1
	v_mul_f16_sdwa v32, v38, v73 dst_sel:DWORD dst_unused:UNUSED_PAD src0_sel:DWORD src1_sel:WORD_1
	v_fma_f16 v31, v38, v73, -v31
	v_fma_f16 v25, v25, v73, v32
	v_lshrrev_b32_e32 v38, 16, v39
	v_pack_b32_f16 v25, v31, v25
	s_waitcnt vmcnt(5)
	v_mul_f16_sdwa v31, v38, v74 dst_sel:DWORD dst_unused:UNUSED_PAD src0_sel:DWORD src1_sel:WORD_1
	v_fma_f16 v40, v39, v74, -v31
	ds_read2_b32 v[31:32], v35 offset0:112 offset1:190
	v_mul_f16_sdwa v39, v39, v74 dst_sel:DWORD dst_unused:UNUSED_PAD src0_sel:DWORD src1_sel:WORD_1
	v_fma_f16 v38, v38, v74, v39
	v_pack_b32_f16 v38, v40, v38
	ds_write2_b32 v36, v25, v38 offset0:84 offset1:162
	s_waitcnt lgkmcnt(1)
	v_lshrrev_b32_e32 v25, 16, v31
	s_waitcnt vmcnt(4)
	v_mul_f16_sdwa v38, v25, v75 dst_sel:DWORD dst_unused:UNUSED_PAD src0_sel:DWORD src1_sel:WORD_1
	v_fma_f16 v38, v31, v75, -v38
	v_mul_f16_sdwa v31, v31, v75 dst_sel:DWORD dst_unused:UNUSED_PAD src0_sel:DWORD src1_sel:WORD_1
	v_fma_f16 v25, v25, v75, v31
	v_lshrrev_b32_e32 v31, 16, v32
	v_pack_b32_f16 v25, v38, v25
	s_waitcnt vmcnt(3)
	v_mul_f16_sdwa v38, v31, v76 dst_sel:DWORD dst_unused:UNUSED_PAD src0_sel:DWORD src1_sel:WORD_1
	v_fma_f16 v40, v32, v76, -v38
	ds_read2_b32 v[38:39], v70 offset0:12 offset1:90
	v_mul_f16_sdwa v32, v32, v76 dst_sel:DWORD dst_unused:UNUSED_PAD src0_sel:DWORD src1_sel:WORD_1
	v_fma_f16 v31, v31, v76, v32
	v_pack_b32_f16 v31, v40, v31
	ds_write2_b32 v35, v25, v31 offset0:112 offset1:190
	s_waitcnt lgkmcnt(1)
	v_lshrrev_b32_e32 v25, 16, v38
	s_waitcnt vmcnt(2)
	v_mul_f16_sdwa v31, v25, v77 dst_sel:DWORD dst_unused:UNUSED_PAD src0_sel:DWORD src1_sel:WORD_1
	v_mul_f16_sdwa v32, v38, v77 dst_sel:DWORD dst_unused:UNUSED_PAD src0_sel:DWORD src1_sel:WORD_1
	v_fma_f16 v31, v38, v77, -v31
	v_fma_f16 v25, v25, v77, v32
	v_pack_b32_f16 v25, v31, v25
	v_lshrrev_b32_e32 v31, 16, v39
	ds_read_b32 v38, v43 offset:3744
	s_waitcnt vmcnt(1)
	v_mul_f16_sdwa v32, v31, v78 dst_sel:DWORD dst_unused:UNUSED_PAD src0_sel:DWORD src1_sel:WORD_1
	v_fma_f16 v32, v39, v78, -v32
	v_mul_f16_sdwa v39, v39, v78 dst_sel:DWORD dst_unused:UNUSED_PAD src0_sel:DWORD src1_sel:WORD_1
	v_fma_f16 v31, v31, v78, v39
	v_pack_b32_f16 v31, v32, v31
	ds_write2_b32 v70, v25, v31 offset0:12 offset1:90
	s_waitcnt lgkmcnt(1)
	v_lshrrev_b32_e32 v25, 16, v38
	s_waitcnt vmcnt(0)
	v_mul_f16_sdwa v31, v25, v33 dst_sel:DWORD dst_unused:UNUSED_PAD src0_sel:DWORD src1_sel:WORD_1
	v_mul_f16_sdwa v32, v38, v33 dst_sel:DWORD dst_unused:UNUSED_PAD src0_sel:DWORD src1_sel:WORD_1
	v_fma_f16 v31, v38, v33, -v31
	v_fma_f16 v25, v25, v33, v32
	v_pack_b32_f16 v25, v31, v25
	ds_write_b32 v43, v25 offset:3744
	s_waitcnt lgkmcnt(0)
	s_barrier
	ds_read2_b32 v[31:32], v43 offset0:156 offset1:234
	ds_read2_b32 v[38:39], v37 offset0:56 offset1:134
	ds_read2_b32 v[40:41], v43 offset1:78
	ds_read2_b32 v[71:72], v36 offset0:84 offset1:162
	ds_read2_b32 v[73:74], v35 offset0:112 offset1:190
	;; [unrolled: 1-line block ×3, first 2 shown]
	ds_read_b32 v25, v43 offset:3744
	s_waitcnt lgkmcnt(4)
	v_pk_add_f16 v33, v40, v41
	v_pk_add_f16 v33, v33, v31
	;; [unrolled: 1-line block ×5, first 2 shown]
	s_waitcnt lgkmcnt(3)
	v_pk_add_f16 v33, v33, v71
	v_pk_add_f16 v33, v33, v72
	s_waitcnt lgkmcnt(2)
	v_pk_add_f16 v33, v33, v73
	v_pk_add_f16 v33, v33, v74
	;; [unrolled: 3-line block ×4, first 2 shown]
	v_pk_add_f16 v25, v41, v25 neg_lo:[0,1] neg_hi:[0,1]
	v_pk_mul_f16 v41, v25, s23 op_sel_hi:[1,0]
	v_pk_add_f16 v95, v76, v31
	v_pk_add_f16 v31, v31, v76 neg_lo:[0,1] neg_hi:[0,1]
	v_pk_fma_f16 v77, v42, s8, v41 op_sel:[0,0,1] op_sel_hi:[1,0,0]
	v_pk_fma_f16 v41, v42, s8, v41 op_sel:[0,0,1] op_sel_hi:[1,0,0] neg_lo:[0,0,1] neg_hi:[0,0,1]
	v_pk_mul_f16 v76, v31, s20 op_sel_hi:[1,0]
	v_bfi_b32 v78, s0, v77, v41
	v_pk_fma_f16 v96, v95, s3, v76 op_sel:[0,0,1] op_sel_hi:[1,0,0]
	v_pk_fma_f16 v76, v95, s3, v76 op_sel:[0,0,1] op_sel_hi:[1,0,0] neg_lo:[0,0,1] neg_hi:[0,0,1]
	v_pk_add_f16 v78, v40, v78
	v_mul_f16_sdwa v79, v25, s20 dst_sel:DWORD dst_unused:UNUSED_PAD src0_sel:WORD_1 src1_sel:DWORD
	v_bfi_b32 v97, s0, v96, v76
	v_fma_f16 v80, v42, s3, v79
	v_pk_add_f16 v78, v97, v78
	v_mul_f16_sdwa v97, v31, s14 dst_sel:DWORD dst_unused:UNUSED_PAD src0_sel:WORD_1 src1_sel:DWORD
	v_add_f16_e32 v80, v40, v80
	v_mul_f16_sdwa v81, v42, s3 dst_sel:DWORD dst_unused:UNUSED_PAD src0_sel:WORD_1 src1_sel:DWORD
	v_fma_f16 v79, v42, s3, -v79
	v_fma_f16 v98, v95, s9, v97
	v_fma_f16 v82, v25, s18, v81
	v_add_f16_e32 v79, v40, v79
	v_fma_f16 v81, v25, s20, v81
	v_add_f16_e32 v80, v98, v80
	v_mul_f16_sdwa v98, v95, s9 dst_sel:DWORD dst_unused:UNUSED_PAD src0_sel:WORD_1 src1_sel:DWORD
	v_fma_f16 v97, v95, s9, -v97
	v_add_f16_sdwa v81, v40, v81 dst_sel:DWORD dst_unused:UNUSED_PAD src0_sel:WORD_1 src1_sel:DWORD
	v_mul_f16_sdwa v83, v25, s25 dst_sel:DWORD dst_unused:UNUSED_PAD src0_sel:WORD_1 src1_sel:DWORD
	v_add_f16_e32 v79, v97, v79
	v_fma_f16 v97, v31, s14, v98
	v_fma_f16 v84, v42, s2, v83
	v_add_f16_e32 v81, v97, v81
	v_mul_f16_sdwa v97, v31, s17 dst_sel:DWORD dst_unused:UNUSED_PAD src0_sel:WORD_1 src1_sel:DWORD
	v_add_f16_e32 v84, v40, v84
	v_mul_f16_sdwa v85, v42, s2 dst_sel:DWORD dst_unused:UNUSED_PAD src0_sel:WORD_1 src1_sel:DWORD
	v_fma_f16 v83, v42, s2, -v83
	v_fma_f16 v99, v31, s21, v98
	v_fma_f16 v98, v95, s13, v97
	;; [unrolled: 1-line block ×3, first 2 shown]
	v_add_f16_e32 v83, v40, v83
	v_fma_f16 v85, v25, s25, v85
	v_add_f16_e32 v84, v98, v84
	v_mul_f16_sdwa v98, v95, s13 dst_sel:DWORD dst_unused:UNUSED_PAD src0_sel:WORD_1 src1_sel:DWORD
	v_fma_f16 v97, v95, s13, -v97
	v_add_f16_sdwa v85, v40, v85 dst_sel:DWORD dst_unused:UNUSED_PAD src0_sel:WORD_1 src1_sel:DWORD
	v_mul_f16_sdwa v87, v25, s14 dst_sel:DWORD dst_unused:UNUSED_PAD src0_sel:WORD_1 src1_sel:DWORD
	v_add_f16_e32 v83, v97, v83
	v_fma_f16 v97, v31, s17, v98
	v_add_f16_sdwa v82, v40, v82 dst_sel:DWORD dst_unused:UNUSED_PAD src0_sel:WORD_1 src1_sel:DWORD
	v_fma_f16 v88, v42, s9, v87
	v_add_f16_e32 v85, v97, v85
	v_mul_f16_sdwa v97, v31, s22 dst_sel:DWORD dst_unused:UNUSED_PAD src0_sel:WORD_1 src1_sel:DWORD
	v_add_f16_e32 v88, v40, v88
	v_mul_f16_sdwa v89, v42, s9 dst_sel:DWORD dst_unused:UNUSED_PAD src0_sel:WORD_1 src1_sel:DWORD
	v_fma_f16 v87, v42, s9, -v87
	v_add_f16_e32 v82, v99, v82
	v_fma_f16 v99, v31, s24, v98
	v_fma_f16 v98, v95, s12, v97
	;; [unrolled: 1-line block ×3, first 2 shown]
	v_add_f16_e32 v87, v40, v87
	v_fma_f16 v89, v25, s14, v89
	v_add_f16_e32 v88, v98, v88
	v_mul_f16_sdwa v98, v95, s12 dst_sel:DWORD dst_unused:UNUSED_PAD src0_sel:WORD_1 src1_sel:DWORD
	v_fma_f16 v97, v95, s12, -v97
	v_add_f16_sdwa v89, v40, v89 dst_sel:DWORD dst_unused:UNUSED_PAD src0_sel:WORD_1 src1_sel:DWORD
	v_mul_f16_sdwa v91, v25, s16 dst_sel:DWORD dst_unused:UNUSED_PAD src0_sel:WORD_1 src1_sel:DWORD
	v_add_f16_e32 v87, v97, v87
	v_fma_f16 v97, v31, s22, v98
	v_add_f16_sdwa v86, v40, v86 dst_sel:DWORD dst_unused:UNUSED_PAD src0_sel:WORD_1 src1_sel:DWORD
	v_fma_f16 v92, v42, s12, v91
	v_add_f16_e32 v89, v97, v89
	v_mul_f16_sdwa v97, v31, s15 dst_sel:DWORD dst_unused:UNUSED_PAD src0_sel:WORD_1 src1_sel:DWORD
	v_add_f16_e32 v92, v40, v92
	v_mul_f16_sdwa v93, v42, s12 dst_sel:DWORD dst_unused:UNUSED_PAD src0_sel:WORD_1 src1_sel:DWORD
	v_fma_f16 v91, v42, s12, -v91
	v_add_f16_e32 v86, v99, v86
	v_fma_f16 v99, v31, s16, v98
	v_fma_f16 v98, v95, s2, v97
	;; [unrolled: 1-line block ×3, first 2 shown]
	v_add_f16_e32 v91, v40, v91
	v_fma_f16 v93, v25, s16, v93
	v_add_f16_e32 v92, v98, v92
	v_mul_f16_sdwa v98, v95, s2 dst_sel:DWORD dst_unused:UNUSED_PAD src0_sel:WORD_1 src1_sel:DWORD
	v_fma_f16 v97, v95, s2, -v97
	v_add_f16_sdwa v93, v40, v93 dst_sel:DWORD dst_unused:UNUSED_PAD src0_sel:WORD_1 src1_sel:DWORD
	v_add_f16_e32 v91, v97, v91
	v_fma_f16 v97, v31, s15, v98
	v_add_f16_e32 v93, v97, v93
	v_pk_add_f16 v97, v75, v32
	v_pk_add_f16 v32, v32, v75 neg_lo:[0,1] neg_hi:[0,1]
	v_add_f16_sdwa v90, v40, v90 dst_sel:DWORD dst_unused:UNUSED_PAD src0_sel:WORD_1 src1_sel:DWORD
	v_pk_mul_f16 v75, v32, s25 op_sel_hi:[1,0]
	v_add_f16_sdwa v94, v40, v94 dst_sel:DWORD dst_unused:UNUSED_PAD src0_sel:WORD_1 src1_sel:DWORD
	v_add_f16_e32 v90, v99, v90
	v_fma_f16 v99, v31, s25, v98
	v_pk_fma_f16 v98, v97, s2, v75 op_sel:[0,0,1] op_sel_hi:[1,0,0]
	v_pk_fma_f16 v75, v97, s2, v75 op_sel:[0,0,1] op_sel_hi:[1,0,0] neg_lo:[0,0,1] neg_hi:[0,0,1]
	v_add_f16_e32 v94, v99, v94
	v_bfi_b32 v99, s0, v98, v75
	v_pk_add_f16 v78, v99, v78
	v_mul_f16_sdwa v99, v32, s17 dst_sel:DWORD dst_unused:UNUSED_PAD src0_sel:WORD_1 src1_sel:DWORD
	v_fma_f16 v100, v97, s13, v99
	v_add_f16_e32 v80, v100, v80
	v_mul_f16_sdwa v100, v97, s13 dst_sel:DWORD dst_unused:UNUSED_PAD src0_sel:WORD_1 src1_sel:DWORD
	v_fma_f16 v99, v97, s13, -v99
	v_add_f16_e32 v79, v99, v79
	v_fma_f16 v99, v32, s17, v100
	v_add_f16_e32 v81, v99, v81
	v_mul_f16_sdwa v99, v32, s21 dst_sel:DWORD dst_unused:UNUSED_PAD src0_sel:WORD_1 src1_sel:DWORD
	v_fma_f16 v101, v32, s24, v100
	v_fma_f16 v100, v97, s9, v99
	v_add_f16_e32 v84, v100, v84
	v_mul_f16_sdwa v100, v97, s9 dst_sel:DWORD dst_unused:UNUSED_PAD src0_sel:WORD_1 src1_sel:DWORD
	v_fma_f16 v99, v97, s9, -v99
	v_add_f16_e32 v83, v99, v83
	v_fma_f16 v99, v32, s21, v100
	v_add_f16_e32 v85, v99, v85
	v_mul_f16_sdwa v99, v32, s19 dst_sel:DWORD dst_unused:UNUSED_PAD src0_sel:WORD_1 src1_sel:DWORD
	v_add_f16_e32 v82, v101, v82
	v_fma_f16 v101, v32, s14, v100
	v_fma_f16 v100, v97, s8, v99
	v_add_f16_e32 v88, v100, v88
	v_mul_f16_sdwa v100, v97, s8 dst_sel:DWORD dst_unused:UNUSED_PAD src0_sel:WORD_1 src1_sel:DWORD
	v_fma_f16 v99, v97, s8, -v99
	v_add_f16_e32 v87, v99, v87
	v_fma_f16 v99, v32, s19, v100
	v_add_f16_e32 v89, v99, v89
	v_mul_f16_sdwa v99, v32, s20 dst_sel:DWORD dst_unused:UNUSED_PAD src0_sel:WORD_1 src1_sel:DWORD
	v_add_f16_e32 v86, v101, v86
	v_fma_f16 v101, v32, s23, v100
	v_fma_f16 v100, v97, s3, v99
	v_add_f16_e32 v92, v100, v92
	v_mul_f16_sdwa v100, v97, s3 dst_sel:DWORD dst_unused:UNUSED_PAD src0_sel:WORD_1 src1_sel:DWORD
	v_fma_f16 v99, v97, s3, -v99
	v_add_f16_e32 v91, v99, v91
	v_fma_f16 v99, v32, s20, v100
	v_add_f16_e32 v93, v99, v93
	v_pk_add_f16 v99, v74, v38
	v_pk_add_f16 v38, v38, v74 neg_lo:[0,1] neg_hi:[0,1]
	v_pk_mul_f16 v74, v38, s14 op_sel_hi:[1,0]
	v_add_f16_e32 v90, v101, v90
	v_fma_f16 v101, v32, s18, v100
	v_pk_fma_f16 v100, v99, s9, v74 op_sel:[0,0,1] op_sel_hi:[1,0,0]
	v_pk_fma_f16 v74, v99, s9, v74 op_sel:[0,0,1] op_sel_hi:[1,0,0] neg_lo:[0,0,1] neg_hi:[0,0,1]
	v_add_f16_e32 v94, v101, v94
	v_bfi_b32 v101, s0, v100, v74
	v_pk_add_f16 v78, v101, v78
	v_mul_f16_sdwa v101, v38, s22 dst_sel:DWORD dst_unused:UNUSED_PAD src0_sel:WORD_1 src1_sel:DWORD
	v_fma_f16 v102, v99, s12, v101
	v_add_f16_e32 v80, v102, v80
	v_mul_f16_sdwa v102, v99, s12 dst_sel:DWORD dst_unused:UNUSED_PAD src0_sel:WORD_1 src1_sel:DWORD
	v_fma_f16 v101, v99, s12, -v101
	v_add_f16_e32 v79, v101, v79
	v_fma_f16 v101, v38, s22, v102
	v_add_f16_e32 v81, v101, v81
	v_mul_f16_sdwa v101, v38, s19 dst_sel:DWORD dst_unused:UNUSED_PAD src0_sel:WORD_1 src1_sel:DWORD
	v_fma_f16 v103, v38, s16, v102
	v_fma_f16 v102, v99, s8, v101
	v_add_f16_e32 v84, v102, v84
	v_mul_f16_sdwa v102, v99, s8 dst_sel:DWORD dst_unused:UNUSED_PAD src0_sel:WORD_1 src1_sel:DWORD
	v_fma_f16 v101, v99, s8, -v101
	v_add_f16_e32 v83, v101, v83
	v_fma_f16 v101, v38, s19, v102
	v_add_f16_e32 v85, v101, v85
	v_mul_f16_sdwa v101, v38, s25 dst_sel:DWORD dst_unused:UNUSED_PAD src0_sel:WORD_1 src1_sel:DWORD
	v_add_f16_e32 v82, v103, v82
	v_fma_f16 v103, v38, s23, v102
	v_fma_f16 v102, v99, s2, v101
	v_add_f16_e32 v88, v102, v88
	v_mul_f16_sdwa v102, v99, s2 dst_sel:DWORD dst_unused:UNUSED_PAD src0_sel:WORD_1 src1_sel:DWORD
	v_fma_f16 v101, v99, s2, -v101
	v_add_f16_e32 v87, v101, v87
	v_fma_f16 v101, v38, s25, v102
	v_add_f16_e32 v89, v101, v89
	v_mul_f16_sdwa v101, v38, s24 dst_sel:DWORD dst_unused:UNUSED_PAD src0_sel:WORD_1 src1_sel:DWORD
	v_add_f16_e32 v86, v103, v86
	v_fma_f16 v103, v38, s15, v102
	v_fma_f16 v102, v99, s13, v101
	v_add_f16_e32 v92, v102, v92
	v_mul_f16_sdwa v102, v99, s13 dst_sel:DWORD dst_unused:UNUSED_PAD src0_sel:WORD_1 src1_sel:DWORD
	v_fma_f16 v101, v99, s13, -v101
	v_add_f16_e32 v91, v101, v91
	v_fma_f16 v101, v38, s24, v102
	v_add_f16_e32 v93, v101, v93
	v_pk_add_f16 v101, v73, v39
	v_pk_add_f16 v39, v39, v73 neg_lo:[0,1] neg_hi:[0,1]
	v_pk_mul_f16 v73, v39, s16 op_sel_hi:[1,0]
	;; [unrolled: 47-line block ×3, first 2 shown]
	v_add_f16_e32 v90, v105, v90
	v_fma_f16 v105, v39, s23, v104
	v_pk_fma_f16 v104, v103, s13, v72 op_sel:[0,0,1] op_sel_hi:[1,0,0]
	v_pk_fma_f16 v72, v103, s13, v72 op_sel:[0,0,1] op_sel_hi:[1,0,0] neg_lo:[0,0,1] neg_hi:[0,0,1]
	v_add_f16_e32 v94, v105, v94
	v_bfi_b32 v105, s0, v104, v72
	v_pk_add_f16 v78, v105, v78
	v_mul_f16_sdwa v105, v71, s19 dst_sel:DWORD dst_unused:UNUSED_PAD src0_sel:WORD_1 src1_sel:DWORD
	v_fma_f16 v106, v103, s8, v105
	v_add_f16_e32 v80, v106, v80
	v_mul_f16_sdwa v106, v103, s8 dst_sel:DWORD dst_unused:UNUSED_PAD src0_sel:WORD_1 src1_sel:DWORD
	v_fma_f16 v105, v103, s8, -v105
	v_add_f16_e32 v79, v105, v79
	v_fma_f16 v105, v71, s19, v106
	v_add_f16_e32 v81, v105, v81
	v_mul_f16_sdwa v105, v71, s16 dst_sel:DWORD dst_unused:UNUSED_PAD src0_sel:WORD_1 src1_sel:DWORD
	v_fma_f16 v107, v71, s23, v106
	v_fma_f16 v106, v103, s12, v105
	v_add_f16_e32 v84, v106, v84
	v_mul_f16_sdwa v106, v103, s12 dst_sel:DWORD dst_unused:UNUSED_PAD src0_sel:WORD_1 src1_sel:DWORD
	v_fma_f16 v105, v103, s12, -v105
	v_add_f16_e32 v83, v105, v83
	v_fma_f16 v105, v71, s16, v106
	v_add_f16_e32 v85, v105, v85
	v_mul_f16_sdwa v105, v71, s18 dst_sel:DWORD dst_unused:UNUSED_PAD src0_sel:WORD_1 src1_sel:DWORD
	v_add_f16_e32 v82, v107, v82
	v_fma_f16 v107, v71, s22, v106
	v_fma_f16 v106, v103, s3, v105
	v_add_f16_e32 v88, v106, v88
	v_mul_f16_sdwa v106, v103, s3 dst_sel:DWORD dst_unused:UNUSED_PAD src0_sel:WORD_1 src1_sel:DWORD
	v_fma_f16 v105, v103, s3, -v105
	v_add_f16_e32 v87, v105, v87
	v_fma_f16 v105, v71, s18, v106
	v_add_f16_e32 v89, v105, v89
	v_mul_f16_sdwa v105, v71, s14 dst_sel:DWORD dst_unused:UNUSED_PAD src0_sel:WORD_1 src1_sel:DWORD
	v_add_f16_e32 v86, v107, v86
	v_fma_f16 v107, v71, s20, v106
	v_fma_f16 v106, v103, s9, v105
	v_add_f16_e32 v92, v106, v92
	v_mul_f16_sdwa v106, v103, s9 dst_sel:DWORD dst_unused:UNUSED_PAD src0_sel:WORD_1 src1_sel:DWORD
	v_add_f16_e32 v90, v107, v90
	v_fma_f16 v107, v71, s21, v106
	v_add_f16_e32 v94, v107, v94
	s_barrier
	ds_write2_b32 v34, v33, v78 offset1:1
	v_pack_b32_f16 v33, v84, v86
	v_pack_b32_f16 v78, v80, v82
	ds_write2_b32 v34, v78, v33 offset0:2 offset1:3
	v_pack_b32_f16 v33, v92, v94
	v_pack_b32_f16 v78, v88, v90
	ds_write2_b32 v34, v78, v33 offset0:4 offset1:5
	v_pk_mul_f16 v33, v42, s13 op_sel_hi:[1,0]
	v_pk_fma_f16 v42, v25, s17, v33 op_sel:[0,0,1] op_sel_hi:[1,0,0]
	v_pk_fma_f16 v25, v25, s17, v33 op_sel:[0,0,1] op_sel_hi:[1,0,0] neg_lo:[1,0,0] neg_hi:[1,0,0]
	v_alignbit_b32 v33, s0, v40, 16
	v_alignbit_b32 v78, s0, v42, 16
	v_pk_add_f16 v33, v33, v42
	v_pk_mul_f16 v42, v95, s8 op_sel_hi:[1,0]
	v_pk_add_f16 v25, v40, v25 op_sel:[1,0] op_sel_hi:[0,1]
	v_pk_fma_f16 v80, v31, s19, v42 op_sel:[0,0,1] op_sel_hi:[1,0,0]
	v_pk_fma_f16 v31, v31, s19, v42 op_sel:[0,0,1] op_sel_hi:[1,0,0] neg_lo:[1,0,0] neg_hi:[1,0,0]
	v_pk_add_f16 v25, v31, v25
	v_pk_add_f16 v31, v80, v33
	v_pk_mul_f16 v33, v97, s12 op_sel_hi:[1,0]
	v_pk_fma_f16 v42, v32, s16, v33 op_sel:[0,0,1] op_sel_hi:[1,0,0]
	v_pk_fma_f16 v32, v32, s16, v33 op_sel:[0,0,1] op_sel_hi:[1,0,0] neg_lo:[1,0,0] neg_hi:[1,0,0]
	v_pk_add_f16 v25, v32, v25
	v_pk_mul_f16 v32, v99, s3 op_sel_hi:[1,0]
	v_pk_fma_f16 v33, v38, s18, v32 op_sel:[0,0,1] op_sel_hi:[1,0,0]
	v_pk_fma_f16 v32, v38, s18, v32 op_sel:[0,0,1] op_sel_hi:[1,0,0] neg_lo:[1,0,0] neg_hi:[1,0,0]
	v_pk_add_f16 v78, v40, v78
	v_alignbit_b32 v82, s0, v80, 16
	v_pk_add_f16 v31, v42, v31
	v_pk_add_f16 v25, v32, v25
	v_pk_mul_f16 v32, v101, s9 op_sel_hi:[1,0]
	v_pk_add_f16 v78, v82, v78
	v_alignbit_b32 v80, s0, v42, 16
	v_alignbit_b32 v42, s0, v33, 16
	v_pk_add_f16 v31, v33, v31
	v_pk_fma_f16 v33, v39, s14, v32 op_sel:[0,0,1] op_sel_hi:[1,0,0]
	v_pk_fma_f16 v32, v39, s14, v32 op_sel:[0,0,1] op_sel_hi:[1,0,0] neg_lo:[1,0,0] neg_hi:[1,0,0]
	v_pk_add_f16 v78, v80, v78
	v_pk_add_f16 v25, v32, v25
	v_pk_mul_f16 v32, v103, s2 op_sel_hi:[1,0]
	v_pk_add_f16 v42, v42, v78
	v_alignbit_b32 v38, s0, v33, 16
	v_pk_add_f16 v31, v33, v31
	v_pk_fma_f16 v33, v71, s15, v32 op_sel:[0,0,1] op_sel_hi:[1,0,0]
	v_fma_f16 v105, v103, s9, -v105
	v_pk_add_f16 v38, v38, v42
	v_alignbit_b32 v39, s0, v33, 16
	v_pk_fma_f16 v32, v71, s15, v32 op_sel:[0,0,1] op_sel_hi:[1,0,0] neg_lo:[1,0,0] neg_hi:[1,0,0]
	v_add_f16_e32 v91, v105, v91
	v_fma_f16 v105, v71, s14, v106
	v_pk_add_f16 v38, v39, v38
	v_pk_add_f16 v25, v32, v25
	;; [unrolled: 1-line block ×3, first 2 shown]
	v_add_f16_e32 v93, v105, v93
	v_alignbit_b32 v31, v31, v25, 16
	v_pack_b32_f16 v25, v38, v25
	ds_write2_b32 v34, v25, v31 offset0:6 offset1:7
	v_pack_b32_f16 v25, v87, v89
	v_pack_b32_f16 v31, v91, v93
	ds_write2_b32 v34, v31, v25 offset0:8 offset1:9
	v_pack_b32_f16 v25, v79, v81
	v_pack_b32_f16 v31, v83, v85
	ds_write2_b32 v34, v31, v25 offset0:10 offset1:11
	v_bfi_b32 v25, s0, v41, v77
	v_pk_add_f16 v25, v40, v25
	v_bfi_b32 v31, s0, v76, v96
	v_pk_add_f16 v25, v31, v25
	;; [unrolled: 2-line block ×6, first 2 shown]
	ds_write_b32 v34, v25 offset:48
	s_waitcnt lgkmcnt(0)
	s_barrier
	ds_read2_b32 v[31:32], v43 offset1:78
	ds_read2_b32 v[41:42], v43 offset0:169 offset1:247
	ds_read2_b32 v[39:40], v37 offset0:82 offset1:160
	;; [unrolled: 1-line block ×5, first 2 shown]
	v_lshrrev_b32_e32 v71, 16, v25
	s_and_saveexec_b64 s[0:1], vcc
	s_cbranch_execz .LBB0_7
; %bb.6:
	v_add_u32_e32 v25, 0x200, v43
	v_add_u32_e32 v27, 0x700, v43
	ds_read2_b32 v[25:26], v25 offset0:28 offset1:197
	ds_read2_b32 v[27:28], v27 offset0:46 offset1:215
	ds_read2_b32 v[29:30], v70 offset0:64 offset1:233
	s_waitcnt lgkmcnt(1)
	v_lshrrev_b32_e32 v66, 16, v27
	v_lshrrev_b32_e32 v71, 16, v25
	;; [unrolled: 1-line block ×4, first 2 shown]
	s_waitcnt lgkmcnt(0)
	v_lshrrev_b32_e32 v67, 16, v29
	v_lshrrev_b32_e32 v65, 16, v30
.LBB0_7:
	s_or_b64 exec, exec, s[0:1]
	s_waitcnt lgkmcnt(4)
	v_lshrrev_b32_e32 v72, 16, v41
	v_mul_f16_sdwa v83, v4, v72 dst_sel:DWORD dst_unused:UNUSED_PAD src0_sel:WORD_1 src1_sel:DWORD
	s_waitcnt lgkmcnt(3)
	v_lshrrev_b32_e32 v73, 16, v39
	v_fma_f16 v83, v4, v41, v83
	v_mul_f16_sdwa v41, v4, v41 dst_sel:DWORD dst_unused:UNUSED_PAD src0_sel:WORD_1 src1_sel:DWORD
	v_fma_f16 v4, v4, v72, -v41
	v_mul_f16_sdwa v41, v5, v73 dst_sel:DWORD dst_unused:UNUSED_PAD src0_sel:WORD_1 src1_sel:DWORD
	s_waitcnt lgkmcnt(2)
	v_lshrrev_b32_e32 v74, 16, v37
	v_fma_f16 v41, v5, v39, v41
	v_mul_f16_sdwa v39, v5, v39 dst_sel:DWORD dst_unused:UNUSED_PAD src0_sel:WORD_1 src1_sel:DWORD
	v_fma_f16 v5, v5, v73, -v39
	;; [unrolled: 6-line block ×4, first 2 shown]
	v_mul_f16_sdwa v35, v62, v76 dst_sel:DWORD dst_unused:UNUSED_PAD src0_sel:WORD_1 src1_sel:DWORD
	v_lshrrev_b32_e32 v78, 16, v42
	v_fma_f16 v35, v62, v33, v35
	v_mul_f16_sdwa v33, v62, v33 dst_sel:DWORD dst_unused:UNUSED_PAD src0_sel:WORD_1 src1_sel:DWORD
	v_fma_f16 v33, v62, v76, -v33
	v_mul_f16_sdwa v62, v8, v78 dst_sel:DWORD dst_unused:UNUSED_PAD src0_sel:WORD_1 src1_sel:DWORD
	v_lshrrev_b32_e32 v79, 16, v40
	v_fma_f16 v62, v8, v42, v62
	v_mul_f16_sdwa v42, v8, v42 dst_sel:DWORD dst_unused:UNUSED_PAD src0_sel:WORD_1 src1_sel:DWORD
	v_fma_f16 v8, v8, v78, -v42
	;; [unrolled: 5-line block ×5, first 2 shown]
	v_mul_f16_sdwa v36, v61, v82 dst_sel:DWORD dst_unused:UNUSED_PAD src0_sel:WORD_1 src1_sel:DWORD
	v_fma_f16 v36, v61, v34, v36
	v_mul_f16_sdwa v34, v61, v34 dst_sel:DWORD dst_unused:UNUSED_PAD src0_sel:WORD_1 src1_sel:DWORD
	v_add_f16_e32 v72, v41, v37
	v_lshrrev_b32_e32 v70, 16, v31
	v_fma_f16 v34, v61, v82, -v34
	v_add_f16_e32 v61, v31, v41
	v_fma_f16 v31, v72, -0.5, v31
	v_sub_f16_e32 v72, v5, v7
	s_mov_b32 s2, 0xbaee
	s_movk_i32 s3, 0x3aee
	v_fma_f16 v73, v72, s2, v31
	v_fma_f16 v31, v72, s3, v31
	v_add_f16_e32 v72, v70, v5
	v_add_f16_e32 v72, v72, v7
	;; [unrolled: 1-line block ×3, first 2 shown]
	v_sub_f16_e32 v7, v41, v37
	v_add_f16_e32 v41, v39, v35
	v_fma_f16 v5, v5, -0.5, v70
	v_fma_f16 v41, v41, -0.5, v83
	v_sub_f16_e32 v70, v6, v33
	v_fma_f16 v74, v70, s2, v41
	v_fma_f16 v41, v70, s3, v41
	v_add_f16_e32 v70, v4, v6
	v_add_f16_e32 v6, v6, v33
	v_fma_f16 v4, v6, -0.5, v4
	v_sub_f16_e32 v6, v39, v35
	v_add_f16_e32 v61, v61, v37
	v_fma_f16 v37, v7, s3, v5
	v_fma_f16 v5, v7, s2, v5
	v_add_f16_e32 v7, v83, v39
	v_add_f16_e32 v70, v70, v33
	v_fma_f16 v33, v6, s3, v4
	v_add_f16_e32 v7, v7, v35
	v_fma_f16 v4, v6, s2, v4
	v_mul_f16_e32 v35, 0xbaee, v33
	v_mul_f16_e32 v33, 0.5, v33
	v_mul_f16_e32 v75, 0xbaee, v4
	v_fma_f16 v33, v74, s3, v33
	v_mul_f16_e32 v4, -0.5, v4
	v_fma_f16 v35, v74, 0.5, v35
	v_add_f16_e32 v74, v37, v33
	v_fma_f16 v4, v41, s3, v4
	v_sub_f16_e32 v33, v37, v33
	v_add_f16_e32 v37, v42, v38
	v_lshrrev_b32_e32 v77, 16, v32
	v_fma_f16 v75, v41, -0.5, v75
	v_add_f16_e32 v41, v5, v4
	v_sub_f16_e32 v4, v5, v4
	v_add_f16_e32 v5, v32, v42
	v_fma_f16 v32, v37, -0.5, v32
	v_sub_f16_e32 v37, v9, v11
	v_add_f16_e32 v6, v61, v7
	v_add_f16_e32 v78, v72, v70
	v_sub_f16_e32 v7, v61, v7
	v_sub_f16_e32 v61, v72, v70
	v_fma_f16 v70, v37, s2, v32
	v_fma_f16 v32, v37, s3, v32
	v_add_f16_e32 v37, v77, v9
	v_add_f16_e32 v9, v9, v11
	;; [unrolled: 1-line block ×3, first 2 shown]
	v_fma_f16 v9, v9, -0.5, v77
	v_sub_f16_e32 v11, v42, v38
	v_add_f16_e32 v42, v40, v36
	v_add_f16_e32 v5, v5, v38
	v_fma_f16 v38, v11, s3, v9
	v_fma_f16 v9, v11, s2, v9
	v_add_f16_e32 v11, v62, v40
	v_fma_f16 v42, v42, -0.5, v62
	v_sub_f16_e32 v62, v10, v34
	v_fma_f16 v72, v62, s2, v42
	v_fma_f16 v42, v62, s3, v42
	v_add_f16_e32 v62, v8, v10
	v_add_f16_e32 v10, v10, v34
	v_fma_f16 v8, v10, -0.5, v8
	v_sub_f16_e32 v10, v40, v36
	v_add_f16_e32 v62, v62, v34
	v_fma_f16 v34, v10, s3, v8
	v_fma_f16 v8, v10, s2, v8
	v_add_f16_e32 v39, v73, v35
	v_sub_f16_e32 v35, v73, v35
	v_mul_f16_e32 v73, 0xbaee, v8
	v_mul_f16_e32 v8, -0.5, v8
	v_fma_f16 v8, v42, s3, v8
	v_add_f16_e32 v76, v31, v75
	v_add_f16_e32 v11, v11, v36
	v_mul_f16_e32 v36, 0xbaee, v34
	v_fma_f16 v73, v42, -0.5, v73
	v_mul_f16_e32 v34, 0.5, v34
	v_add_f16_e32 v42, v9, v8
	v_sub_f16_e32 v8, v9, v8
	v_pack_b32_f16 v6, v6, v78
	v_pack_b32_f16 v9, v39, v74
	v_sub_f16_e32 v31, v31, v75
	v_fma_f16 v36, v72, 0.5, v36
	v_fma_f16 v34, v72, s3, v34
	s_barrier
	ds_write2_b32 v68, v6, v9 offset1:13
	v_pack_b32_f16 v6, v76, v41
	v_pack_b32_f16 v7, v7, v61
	v_add_f16_e32 v10, v5, v11
	v_add_f16_e32 v40, v70, v36
	;; [unrolled: 1-line block ×4, first 2 shown]
	ds_write2_b32 v68, v6, v7 offset0:26 offset1:39
	v_pack_b32_f16 v6, v35, v33
	v_pack_b32_f16 v4, v31, v4
	v_add_f16_e32 v75, v32, v73
	v_sub_f16_e32 v5, v5, v11
	v_sub_f16_e32 v11, v70, v36
	;; [unrolled: 1-line block ×3, first 2 shown]
	ds_write2_b32 v68, v6, v4 offset0:52 offset1:65
	v_pack_b32_f16 v4, v10, v77
	v_pack_b32_f16 v6, v40, v72
	v_sub_f16_e32 v32, v32, v73
	v_sub_f16_e32 v34, v38, v34
	ds_write2_b32 v69, v4, v6 offset1:13
	v_pack_b32_f16 v4, v75, v42
	v_pack_b32_f16 v5, v5, v36
	ds_write2_b32 v69, v4, v5 offset0:26 offset1:39
	v_pack_b32_f16 v4, v11, v34
	v_pack_b32_f16 v5, v32, v8
	ds_write2_b32 v69, v4, v5 offset0:52 offset1:65
	s_and_saveexec_b64 s[0:1], vcc
	s_cbranch_execz .LBB0_9
; %bb.8:
	v_mul_f16_sdwa v10, v2, v64 dst_sel:DWORD dst_unused:UNUSED_PAD src0_sel:WORD_1 src1_sel:DWORD
	v_fma_f16 v10, v2, v28, v10
	v_mul_f16_sdwa v28, v2, v28 dst_sel:DWORD dst_unused:UNUSED_PAD src0_sel:WORD_1 src1_sel:DWORD
	v_mul_f16_sdwa v9, v0, v63 dst_sel:DWORD dst_unused:UNUSED_PAD src0_sel:WORD_1 src1_sel:DWORD
	v_fma_f16 v2, v2, v64, -v28
	v_mul_f16_sdwa v28, v60, v30 dst_sel:DWORD dst_unused:UNUSED_PAD src0_sel:WORD_1 src1_sel:DWORD
	v_mul_f16_sdwa v4, v1, v27 dst_sel:DWORD dst_unused:UNUSED_PAD src0_sel:WORD_1 src1_sel:DWORD
	v_mul_f16_sdwa v7, v1, v66 dst_sel:DWORD dst_unused:UNUSED_PAD src0_sel:WORD_1 src1_sel:DWORD
	v_fma_f16 v9, v0, v26, v9
	v_fma_f16 v28, v60, v65, -v28
	v_mul_f16_sdwa v26, v0, v26 dst_sel:DWORD dst_unused:UNUSED_PAD src0_sel:WORD_1 src1_sel:DWORD
	v_fma_f16 v4, v1, v66, -v4
	v_mul_f16_sdwa v5, v3, v29 dst_sel:DWORD dst_unused:UNUSED_PAD src0_sel:WORD_1 src1_sel:DWORD
	v_fma_f16 v1, v1, v27, v7
	v_mul_f16_sdwa v7, v3, v67 dst_sel:DWORD dst_unused:UNUSED_PAD src0_sel:WORD_1 src1_sel:DWORD
	v_mul_f16_sdwa v11, v60, v65 dst_sel:DWORD dst_unused:UNUSED_PAD src0_sel:WORD_1 src1_sel:DWORD
	v_fma_f16 v0, v0, v63, -v26
	v_add_f16_e32 v26, v2, v28
	v_fma_f16 v5, v3, v67, -v5
	v_fma_f16 v3, v3, v29, v7
	v_fma_f16 v11, v60, v30, v11
	v_fma_f16 v26, v26, -0.5, v0
	v_add_f16_e32 v0, v0, v2
	v_add_f16_e32 v6, v4, v5
	v_sub_f16_e32 v7, v1, v3
	v_add_f16_e32 v27, v10, v11
	v_sub_f16_e32 v29, v2, v28
	v_sub_f16_e32 v31, v10, v11
	v_add_f16_e32 v0, v0, v28
	v_add_f16_e32 v28, v1, v3
	;; [unrolled: 1-line block ×3, first 2 shown]
	v_fma_f16 v6, v6, -0.5, v71
	v_fma_f16 v27, v27, -0.5, v9
	v_fma_f16 v32, v31, s2, v26
	v_fma_f16 v26, v31, s3, v26
	v_add_f16_e32 v1, v1, v3
	v_add_f16_e32 v3, v9, v10
	v_fma_f16 v8, v7, s2, v6
	v_fma_f16 v30, v29, s3, v27
	;; [unrolled: 1-line block ×4, first 2 shown]
	v_mul_f16_e32 v27, 0.5, v26
	v_add_f16_e32 v31, v71, v4
	v_fma_f16 v28, v28, -0.5, v25
	v_sub_f16_e32 v4, v4, v5
	v_mul_f16_e32 v26, 0xbaee, v26
	v_add_f16_e32 v3, v3, v11
	v_mul_f16_e32 v33, -0.5, v32
	v_fma_f16 v27, v7, s3, v27
	v_add_f16_e32 v31, v31, v5
	v_fma_f16 v5, v4, s3, v28
	v_mul_f16_e32 v32, 0xbaee, v32
	v_fma_f16 v4, v4, s2, v28
	v_fma_f16 v7, v7, 0.5, v26
	v_sub_f16_e32 v9, v1, v3
	v_add_f16_e32 v1, v1, v3
	v_and_b32_e32 v3, 0xff, v59
	v_fma_f16 v33, v30, s3, v33
	v_sub_f16_e32 v29, v6, v27
	v_sub_f16_e32 v2, v31, v0
	v_fma_f16 v30, v30, -0.5, v32
	v_sub_f16_e32 v26, v4, v7
	v_add_f16_e32 v6, v6, v27
	v_add_f16_e32 v0, v31, v0
	;; [unrolled: 1-line block ×3, first 2 shown]
	v_lshl_add_u32 v3, v3, 2, v58
	v_sub_f16_e32 v34, v8, v33
	v_sub_f16_e32 v32, v5, v30
	v_add_f16_e32 v8, v8, v33
	v_add_f16_e32 v5, v5, v30
	v_pack_b32_f16 v0, v1, v0
	v_pack_b32_f16 v1, v4, v6
	v_add_u32_e32 v3, 0xc00, v3
	ds_write2_b32 v3, v0, v1 offset0:168 offset1:181
	v_pack_b32_f16 v0, v5, v8
	v_pack_b32_f16 v1, v9, v2
	ds_write2_b32 v3, v0, v1 offset0:194 offset1:207
	v_pack_b32_f16 v0, v26, v29
	v_pack_b32_f16 v1, v32, v34
	ds_write2_b32 v3, v0, v1 offset0:220 offset1:233
.LBB0_9:
	s_or_b64 exec, exec, s[0:1]
	s_waitcnt lgkmcnt(0)
	s_barrier
	ds_read2_b32 v[5:6], v43 offset1:78
	ds_read2_b32 v[7:8], v43 offset0:156 offset1:234
	v_add_u32_e32 v4, 0x400, v43
	ds_read2_b32 v[9:10], v4 offset0:56 offset1:134
	v_add_u32_e32 v3, 0x600, v43
	s_waitcnt lgkmcnt(2)
	v_lshrrev_b32_e32 v2, 16, v6
	ds_read2_b32 v[25:26], v3 offset0:84 offset1:162
	v_mul_f16_sdwa v42, v12, v2 dst_sel:DWORD dst_unused:UNUSED_PAD src0_sel:WORD_1 src1_sel:DWORD
	s_waitcnt lgkmcnt(2)
	v_lshrrev_b32_e32 v11, 16, v7
	v_add_u32_e32 v1, 0x800, v43
	v_fma_f16 v42, v12, v6, v42
	v_mul_f16_sdwa v6, v12, v6 dst_sel:DWORD dst_unused:UNUSED_PAD src0_sel:WORD_1 src1_sel:DWORD
	ds_read2_b32 v[27:28], v1 offset0:112 offset1:190
	v_fma_f16 v2, v12, v2, -v6
	v_mul_f16_sdwa v6, v13, v11 dst_sel:DWORD dst_unused:UNUSED_PAD src0_sel:WORD_1 src1_sel:DWORD
	v_lshrrev_b32_e32 v31, 16, v8
	s_waitcnt lgkmcnt(2)
	v_lshrrev_b32_e32 v32, 16, v9
	v_add_u32_e32 v0, 0xc00, v43
	v_fma_f16 v6, v13, v7, v6
	v_mul_f16_sdwa v7, v13, v7 dst_sel:DWORD dst_unused:UNUSED_PAD src0_sel:WORD_1 src1_sel:DWORD
	v_lshrrev_b32_e32 v33, 16, v10
	ds_read2_b32 v[29:30], v0 offset0:12 offset1:90
	v_fma_f16 v7, v13, v11, -v7
	v_mul_f16_sdwa v11, v14, v31 dst_sel:DWORD dst_unused:UNUSED_PAD src0_sel:WORD_1 src1_sel:DWORD
	v_mul_f16_sdwa v12, v15, v32 dst_sel:DWORD dst_unused:UNUSED_PAD src0_sel:WORD_1 src1_sel:DWORD
	s_waitcnt lgkmcnt(2)
	v_lshrrev_b32_e32 v34, 16, v25
	v_fma_f16 v11, v14, v8, v11
	v_mul_f16_sdwa v8, v14, v8 dst_sel:DWORD dst_unused:UNUSED_PAD src0_sel:WORD_1 src1_sel:DWORD
	v_fma_f16 v12, v15, v9, v12
	v_mul_f16_sdwa v9, v15, v9 dst_sel:DWORD dst_unused:UNUSED_PAD src0_sel:WORD_1 src1_sel:DWORD
	v_mul_f16_sdwa v13, v16, v33 dst_sel:DWORD dst_unused:UNUSED_PAD src0_sel:WORD_1 src1_sel:DWORD
	v_lshrrev_b32_e32 v35, 16, v26
	ds_read_b32 v36, v43 offset:3744
	v_fma_f16 v8, v14, v31, -v8
	v_fma_f16 v9, v15, v32, -v9
	v_fma_f16 v13, v16, v10, v13
	v_mul_f16_sdwa v10, v16, v10 dst_sel:DWORD dst_unused:UNUSED_PAD src0_sel:WORD_1 src1_sel:DWORD
	v_mul_f16_sdwa v14, v17, v34 dst_sel:DWORD dst_unused:UNUSED_PAD src0_sel:WORD_1 src1_sel:DWORD
	;; [unrolled: 1-line block ×3, first 2 shown]
	s_waitcnt lgkmcnt(2)
	v_lshrrev_b32_e32 v37, 16, v27
	v_fma_f16 v10, v16, v33, -v10
	v_fma_f16 v14, v17, v25, v14
	v_fma_f16 v15, v17, v34, -v15
	v_mul_f16_sdwa v16, v18, v35 dst_sel:DWORD dst_unused:UNUSED_PAD src0_sel:WORD_1 src1_sel:DWORD
	v_mul_f16_sdwa v17, v18, v26 dst_sel:DWORD dst_unused:UNUSED_PAD src0_sel:WORD_1 src1_sel:DWORD
	v_lshrrev_b32_e32 v38, 16, v28
	v_fma_f16 v16, v18, v26, v16
	v_fma_f16 v17, v18, v35, -v17
	v_mul_f16_sdwa v18, v19, v37 dst_sel:DWORD dst_unused:UNUSED_PAD src0_sel:WORD_1 src1_sel:DWORD
	v_mul_f16_sdwa v25, v19, v27 dst_sel:DWORD dst_unused:UNUSED_PAD src0_sel:WORD_1 src1_sel:DWORD
	s_waitcnt lgkmcnt(1)
	v_lshrrev_b32_e32 v39, 16, v29
	v_fma_f16 v18, v19, v27, v18
	v_fma_f16 v19, v19, v37, -v25
	v_mul_f16_sdwa v25, v20, v38 dst_sel:DWORD dst_unused:UNUSED_PAD src0_sel:WORD_1 src1_sel:DWORD
	v_mul_f16_sdwa v26, v20, v28 dst_sel:DWORD dst_unused:UNUSED_PAD src0_sel:WORD_1 src1_sel:DWORD
	v_lshrrev_b32_e32 v40, 16, v30
	v_fma_f16 v25, v20, v28, v25
	v_fma_f16 v20, v20, v38, -v26
	v_mul_f16_sdwa v26, v21, v39 dst_sel:DWORD dst_unused:UNUSED_PAD src0_sel:WORD_1 src1_sel:DWORD
	v_mul_f16_sdwa v27, v21, v29 dst_sel:DWORD dst_unused:UNUSED_PAD src0_sel:WORD_1 src1_sel:DWORD
	s_waitcnt lgkmcnt(0)
	v_lshrrev_b32_e32 v41, 16, v36
	v_fma_f16 v26, v21, v29, v26
	v_fma_f16 v21, v21, v39, -v27
	v_mul_f16_sdwa v27, v22, v40 dst_sel:DWORD dst_unused:UNUSED_PAD src0_sel:WORD_1 src1_sel:DWORD
	v_mul_f16_sdwa v28, v22, v30 dst_sel:DWORD dst_unused:UNUSED_PAD src0_sel:WORD_1 src1_sel:DWORD
	v_fma_f16 v27, v22, v30, v27
	v_fma_f16 v22, v22, v40, -v28
	v_mul_f16_sdwa v28, v23, v41 dst_sel:DWORD dst_unused:UNUSED_PAD src0_sel:WORD_1 src1_sel:DWORD
	v_mul_f16_sdwa v29, v23, v36 dst_sel:DWORD dst_unused:UNUSED_PAD src0_sel:WORD_1 src1_sel:DWORD
	v_fma_f16 v28, v23, v36, v28
	v_fma_f16 v23, v23, v41, -v29
	v_add_f16_e32 v29, v5, v42
	v_add_f16_sdwa v30, v5, v2 dst_sel:DWORD dst_unused:UNUSED_PAD src0_sel:WORD_1 src1_sel:DWORD
	v_add_f16_e32 v29, v29, v6
	v_add_f16_e32 v30, v30, v7
	v_add_f16_e32 v29, v29, v11
	v_add_f16_e32 v30, v30, v8
	v_add_f16_e32 v29, v29, v12
	v_add_f16_e32 v30, v30, v9
	v_add_f16_e32 v29, v29, v13
	v_add_f16_e32 v30, v30, v10
	v_add_f16_e32 v29, v29, v14
	v_add_f16_e32 v30, v30, v15
	v_add_f16_e32 v29, v29, v16
	v_add_f16_e32 v30, v30, v17
	v_add_f16_e32 v29, v29, v18
	v_add_f16_e32 v30, v30, v19
	v_add_f16_e32 v29, v29, v25
	v_add_f16_e32 v30, v30, v20
	v_add_f16_e32 v29, v29, v26
	v_add_f16_e32 v30, v30, v21
	v_add_f16_e32 v29, v29, v27
	v_add_f16_e32 v30, v30, v22
	v_add_f16_e32 v32, v2, v23
	v_sub_f16_e32 v2, v2, v23
	v_add_f16_e32 v29, v29, v28
	v_add_f16_e32 v30, v30, v23
	v_add_f16_e32 v31, v42, v28
	v_sub_f16_e32 v28, v42, v28
	s_mov_b32 s12, 0xb770
	v_mul_f16_e32 v23, 0xb770, v2
	s_movk_i32 s13, 0x3b15
	v_mul_f16_e32 v34, 0x3b15, v32
	s_movk_i32 s14, 0x3770
	s_mov_b32 s3, 0xba95
	v_mul_f16_e32 v36, 0xba95, v2
	s_movk_i32 s8, 0x388b
	v_mul_f16_e32 v38, 0x388b, v32
	s_movk_i32 s9, 0x3a95
	;; [unrolled: 5-line block ×3, first 2 shown]
	s_mov_b32 s15, 0xbb7b
	v_mul_f16_e32 v59, 0xbb7b, v2
	s_mov_b32 s16, 0xb5ac
	v_mul_f16_e32 v61, 0xb5ac, v32
	s_movk_i32 s17, 0x3b7b
	s_mov_b32 s18, 0xb94e
	v_mul_f16_e32 v63, 0xb94e, v2
	s_mov_b32 s19, 0xb9fd
	v_mul_f16_e32 v65, 0xb9fd, v32
	s_movk_i32 s20, 0x394e
	;; [unrolled: 5-line block ×3, first 2 shown]
	v_fma_f16 v33, v31, s13, v23
	v_fma_f16 v35, v28, s14, v34
	v_fma_f16 v23, v31, s13, -v23
	v_fma_f16 v34, v28, s12, v34
	v_fma_f16 v37, v31, s8, v36
	v_fma_f16 v39, v28, s9, v38
	v_fma_f16 v36, v31, s8, -v36
	v_fma_f16 v38, v28, s3, v38
	;; [unrolled: 4-line block ×6, first 2 shown]
	v_add_f16_e32 v31, v7, v22
	v_sub_f16_e32 v7, v7, v22
	v_add_f16_e32 v33, v5, v33
	v_add_f16_sdwa v35, v5, v35 dst_sel:DWORD dst_unused:UNUSED_PAD src0_sel:WORD_1 src1_sel:DWORD
	v_add_f16_e32 v23, v5, v23
	v_add_f16_sdwa v34, v5, v34 dst_sel:DWORD dst_unused:UNUSED_PAD src0_sel:WORD_1 src1_sel:DWORD
	;; [unrolled: 2-line block ×12, first 2 shown]
	v_add_f16_e32 v28, v6, v27
	v_mul_f16_e32 v22, 0xba95, v7
	v_sub_f16_e32 v6, v6, v27
	v_fma_f16 v27, v28, s8, v22
	v_mul_f16_e32 v32, 0x388b, v31
	v_fma_f16 v22, v28, s8, -v22
	v_add_f16_e32 v27, v27, v33
	v_fma_f16 v33, v6, s9, v32
	v_add_f16_e32 v22, v22, v23
	v_fma_f16 v23, v6, s3, v32
	v_mul_f16_e32 v32, 0xbb7b, v7
	v_add_f16_e32 v33, v33, v35
	v_add_f16_e32 v23, v23, v34
	v_fma_f16 v34, v28, s16, v32
	v_mul_f16_e32 v35, 0xb5ac, v31
	v_fma_f16 v32, v28, s16, -v32
	v_add_f16_e32 v34, v34, v37
	v_fma_f16 v37, v6, s17, v35
	v_add_f16_e32 v32, v32, v36
	v_fma_f16 v35, v6, s15, v35
	v_mul_f16_e32 v36, 0xb3a8, v7
	v_add_f16_e32 v37, v37, v39
	v_add_f16_e32 v35, v35, v38
	;; [unrolled: 10-line block ×4, first 2 shown]
	v_fma_f16 v61, v28, s1, v59
	v_mul_f16_e32 v62, 0x2fb7, v31
	v_fma_f16 v59, v28, s1, -v59
	v_mul_f16_e32 v7, 0x3770, v7
	v_add_f16_e32 v61, v61, v64
	v_fma_f16 v64, v6, s0, v62
	v_add_f16_e32 v59, v59, v63
	v_fma_f16 v62, v6, s2, v62
	v_fma_f16 v63, v28, s13, v7
	v_mul_f16_e32 v31, 0x3b15, v31
	v_fma_f16 v7, v28, s13, -v7
	v_add_f16_e32 v62, v62, v65
	v_fma_f16 v65, v6, s12, v31
	v_add_f16_e32 v2, v7, v2
	v_fma_f16 v6, v6, s14, v31
	v_add_f16_e32 v7, v8, v21
	v_sub_f16_e32 v8, v8, v21
	v_add_f16_e32 v5, v6, v5
	v_add_f16_e32 v6, v11, v26
	v_mul_f16_e32 v21, 0xbbf1, v8
	v_sub_f16_e32 v11, v11, v26
	v_fma_f16 v26, v6, s1, v21
	v_add_f16_e32 v26, v26, v27
	v_mul_f16_e32 v27, 0x2fb7, v7
	v_fma_f16 v21, v6, s1, -v21
	v_add_f16_e32 v21, v21, v22
	v_fma_f16 v22, v11, s0, v27
	v_add_f16_e32 v22, v22, v23
	v_mul_f16_e32 v23, 0xb3a8, v8
	v_fma_f16 v28, v11, s2, v27
	v_fma_f16 v27, v6, s22, v23
	v_fma_f16 v23, v6, s22, -v23
	v_mul_f16_e32 v31, 0xbbc4, v7
	v_add_f16_e32 v23, v23, v32
	v_mul_f16_e32 v32, 0x3b7b, v8
	v_add_f16_e32 v28, v28, v33
	v_add_f16_e32 v27, v27, v34
	v_fma_f16 v33, v11, s23, v31
	v_fma_f16 v31, v11, s21, v31
	;; [unrolled: 1-line block ×3, first 2 shown]
	v_fma_f16 v32, v6, s16, -v32
	v_add_f16_e32 v31, v31, v35
	v_mul_f16_e32 v35, 0xb5ac, v7
	v_add_f16_e32 v32, v32, v36
	v_mul_f16_e32 v36, 0x3770, v8
	v_add_f16_e32 v33, v33, v37
	v_add_f16_e32 v34, v34, v38
	v_fma_f16 v37, v11, s15, v35
	v_fma_f16 v35, v11, s17, v35
	;; [unrolled: 1-line block ×3, first 2 shown]
	v_fma_f16 v36, v6, s13, -v36
	v_add_f16_e32 v35, v35, v39
	v_mul_f16_e32 v39, 0x3b15, v7
	v_add_f16_e32 v36, v36, v40
	v_mul_f16_e32 v40, 0xba95, v8
	v_add_f16_e32 v37, v37, v41
	v_add_f16_e32 v38, v38, v42
	v_fma_f16 v41, v11, s12, v39
	v_fma_f16 v39, v11, s14, v39
	;; [unrolled: 1-line block ×3, first 2 shown]
	v_fma_f16 v40, v6, s8, -v40
	v_mul_f16_e32 v8, 0xb94e, v8
	v_add_f16_e32 v39, v39, v58
	v_mul_f16_e32 v58, 0x388b, v7
	v_add_f16_e32 v40, v40, v59
	v_fma_f16 v59, v6, s19, v8
	v_mul_f16_e32 v7, 0xb9fd, v7
	v_fma_f16 v6, v6, s19, -v8
	v_add_f16_e32 v42, v42, v61
	v_fma_f16 v61, v11, s20, v7
	v_add_f16_e32 v2, v6, v2
	v_fma_f16 v6, v11, s18, v7
	v_add_f16_e32 v7, v9, v20
	v_sub_f16_e32 v9, v9, v20
	v_add_f16_e32 v41, v41, v60
	v_fma_f16 v60, v11, s9, v58
	v_fma_f16 v58, v11, s3, v58
	v_add_f16_e32 v5, v6, v5
	v_add_f16_e32 v6, v12, v25
	v_mul_f16_e32 v11, 0xbb7b, v9
	v_sub_f16_e32 v8, v12, v25
	v_fma_f16 v12, v6, s16, v11
	v_mul_f16_e32 v20, 0xb5ac, v7
	v_fma_f16 v11, v6, s16, -v11
	v_fma_f16 v25, v8, s17, v20
	v_add_f16_e32 v11, v11, v21
	v_fma_f16 v20, v8, s15, v20
	v_mul_f16_e32 v21, 0x394e, v9
	v_add_f16_e32 v12, v12, v26
	v_add_f16_e32 v20, v20, v22
	v_fma_f16 v22, v6, s19, v21
	v_mul_f16_e32 v26, 0xb9fd, v7
	v_fma_f16 v21, v6, s19, -v21
	v_add_f16_e32 v22, v22, v27
	v_fma_f16 v27, v8, s18, v26
	v_add_f16_e32 v21, v21, v23
	v_fma_f16 v23, v8, s20, v26
	v_mul_f16_e32 v26, 0x3770, v9
	v_add_f16_e32 v25, v25, v28
	v_fma_f16 v28, v6, s13, v26
	v_fma_f16 v26, v6, s13, -v26
	v_add_f16_e32 v23, v23, v31
	v_mul_f16_e32 v31, 0x3b15, v7
	v_add_f16_e32 v26, v26, v32
	v_mul_f16_e32 v32, 0xbbf1, v9
	v_add_f16_e32 v27, v27, v33
	v_add_f16_e32 v28, v28, v34
	v_fma_f16 v33, v8, s12, v31
	v_fma_f16 v31, v8, s14, v31
	;; [unrolled: 1-line block ×3, first 2 shown]
	v_fma_f16 v32, v6, s1, -v32
	v_add_f16_e32 v31, v31, v35
	v_mul_f16_e32 v35, 0x2fb7, v7
	v_add_f16_e32 v32, v32, v36
	v_mul_f16_e32 v36, 0x33a8, v9
	v_add_f16_e32 v33, v33, v37
	v_add_f16_e32 v34, v34, v38
	v_fma_f16 v37, v8, s2, v35
	v_fma_f16 v35, v8, s0, v35
	v_fma_f16 v38, v6, s22, v36
	v_fma_f16 v36, v6, s22, -v36
	v_mul_f16_e32 v9, 0x3a95, v9
	v_add_f16_e32 v35, v35, v39
	v_mul_f16_e32 v39, 0xbbc4, v7
	v_add_f16_e32 v36, v36, v40
	v_fma_f16 v40, v6, s8, v9
	v_mul_f16_e32 v7, 0x388b, v7
	v_fma_f16 v6, v6, s8, -v9
	v_add_f16_e32 v2, v6, v2
	v_fma_f16 v6, v8, s9, v7
	v_sub_f16_e32 v9, v10, v19
	v_add_f16_e32 v38, v38, v42
	v_fma_f16 v42, v8, s3, v7
	v_add_f16_e32 v5, v6, v5
	v_add_f16_e32 v6, v13, v18
	;; [unrolled: 1-line block ×3, first 2 shown]
	v_mul_f16_e32 v10, 0xb94e, v9
	v_add_f16_e32 v37, v37, v41
	v_fma_f16 v41, v8, s21, v39
	v_fma_f16 v39, v8, s23, v39
	v_sub_f16_e32 v8, v13, v18
	v_fma_f16 v13, v6, s19, v10
	v_add_f16_e32 v12, v13, v12
	v_mul_f16_e32 v13, 0xb9fd, v7
	v_fma_f16 v10, v6, s19, -v10
	v_fma_f16 v18, v8, s20, v13
	v_add_f16_e32 v10, v10, v11
	v_fma_f16 v11, v8, s18, v13
	v_mul_f16_e32 v13, 0x3bf1, v9
	v_add_f16_e32 v11, v11, v20
	v_fma_f16 v19, v6, s1, v13
	v_mul_f16_e32 v20, 0x2fb7, v7
	v_fma_f16 v13, v6, s1, -v13
	v_add_f16_e32 v19, v19, v22
	v_fma_f16 v22, v8, s0, v20
	v_add_f16_e32 v13, v13, v21
	v_fma_f16 v20, v8, s2, v20
	v_mul_f16_e32 v21, 0xba95, v9
	v_add_f16_e32 v20, v20, v23
	v_fma_f16 v23, v6, s8, v21
	v_fma_f16 v21, v6, s8, -v21
	v_add_f16_e32 v18, v18, v25
	v_mul_f16_e32 v25, 0x388b, v7
	v_add_f16_e32 v21, v21, v26
	v_mul_f16_e32 v26, 0x33a8, v9
	v_add_f16_e32 v22, v22, v27
	v_add_f16_e32 v23, v23, v28
	v_fma_f16 v27, v8, s9, v25
	v_fma_f16 v25, v8, s3, v25
	;; [unrolled: 1-line block ×3, first 2 shown]
	v_fma_f16 v26, v6, s22, -v26
	v_add_f16_e32 v25, v25, v31
	v_mul_f16_e32 v31, 0xbbc4, v7
	v_add_f16_e32 v26, v26, v32
	v_mul_f16_e32 v32, 0x3770, v9
	v_add_f16_e32 v27, v27, v33
	v_add_f16_e32 v28, v28, v34
	v_fma_f16 v33, v8, s21, v31
	v_fma_f16 v31, v8, s23, v31
	;; [unrolled: 1-line block ×3, first 2 shown]
	v_fma_f16 v32, v6, s13, -v32
	v_mul_f16_e32 v9, 0xbb7b, v9
	v_add_f16_e32 v31, v31, v35
	v_mul_f16_e32 v35, 0x3b15, v7
	v_add_f16_e32 v32, v32, v36
	v_fma_f16 v36, v6, s16, v9
	v_mul_f16_e32 v7, 0xb5ac, v7
	v_fma_f16 v6, v6, s16, -v9
	v_add_f16_e32 v2, v6, v2
	v_fma_f16 v6, v8, s15, v7
	v_sub_f16_e32 v9, v15, v17
	v_add_f16_e32 v33, v33, v37
	v_add_f16_e32 v34, v34, v38
	v_fma_f16 v37, v8, s12, v35
	v_fma_f16 v35, v8, s14, v35
	;; [unrolled: 1-line block ×3, first 2 shown]
	v_add_f16_e32 v5, v6, v5
	v_add_f16_e32 v6, v14, v16
	v_sub_f16_e32 v8, v14, v16
	v_mul_f16_e32 v14, 0xb3a8, v9
	v_add_f16_e32 v7, v15, v17
	v_fma_f16 v15, v6, s22, v14
	v_add_f16_e32 v12, v15, v12
	v_mul_f16_e32 v15, 0xbbc4, v7
	v_fma_f16 v14, v6, s22, -v14
	v_add_f16_e32 v10, v14, v10
	v_fma_f16 v14, v8, s21, v15
	v_add_f16_e32 v11, v14, v11
	v_mul_f16_e32 v14, 0x3770, v9
	v_fma_f16 v16, v8, s23, v15
	v_fma_f16 v15, v6, s13, v14
	v_mul_f16_e32 v17, 0x3b15, v7
	v_fma_f16 v14, v6, s13, -v14
	v_add_f16_e32 v16, v16, v18
	v_fma_f16 v18, v8, s12, v17
	v_add_f16_e32 v13, v14, v13
	v_fma_f16 v14, v8, s14, v17
	v_mul_f16_e32 v17, 0xb94e, v9
	v_add_f16_e32 v15, v15, v19
	v_fma_f16 v19, v6, s19, v17
	v_fma_f16 v17, v6, s19, -v17
	v_add_f16_e32 v14, v14, v20
	v_mul_f16_e32 v20, 0xb9fd, v7
	v_add_f16_e32 v17, v17, v21
	v_mul_f16_e32 v21, 0x3a95, v9
	v_add_f16_e32 v18, v18, v22
	v_add_f16_e32 v19, v19, v23
	v_fma_f16 v22, v8, s20, v20
	v_fma_f16 v20, v8, s18, v20
	;; [unrolled: 1-line block ×3, first 2 shown]
	v_fma_f16 v21, v6, s8, -v21
	v_add_f16_e32 v20, v20, v25
	v_mul_f16_e32 v25, 0x388b, v7
	v_add_f16_e32 v21, v21, v26
	v_mul_f16_e32 v26, 0xbb7b, v9
	v_add_f16_e32 v64, v64, v66
	v_add_f16_e32 v22, v22, v27
	;; [unrolled: 1-line block ×3, first 2 shown]
	v_fma_f16 v27, v8, s3, v25
	v_fma_f16 v25, v8, s9, v25
	;; [unrolled: 1-line block ×3, first 2 shown]
	v_fma_f16 v26, v6, s16, -v26
	v_mul_f16_e32 v9, 0x3bf1, v9
	v_add_f16_e32 v63, v63, v67
	v_add_f16_e32 v65, v65, v68
	;; [unrolled: 1-line block ×4, first 2 shown]
	v_mul_f16_e32 v31, 0xb5ac, v7
	v_add_f16_e32 v26, v26, v32
	v_fma_f16 v32, v6, s1, v9
	v_mul_f16_e32 v7, 0x2fb7, v7
	v_fma_f16 v6, v6, s1, -v9
	v_add_f16_e32 v59, v59, v63
	v_add_f16_e32 v61, v61, v65
	;; [unrolled: 1-line block ×4, first 2 shown]
	v_fma_f16 v6, v8, s2, v7
	v_add_f16_e32 v58, v58, v62
	v_add_f16_e32 v40, v40, v59
	;; [unrolled: 1-line block ×6, first 2 shown]
	v_fma_f16 v33, v8, s17, v31
	v_fma_f16 v34, v8, s0, v7
	v_add_f16_e32 v5, v6, v5
	v_pack_b32_f16 v6, v29, v30
	v_pack_b32_f16 v7, v12, v16
	v_add_f16_e32 v39, v39, v58
	v_add_f16_e32 v36, v36, v40
	;; [unrolled: 1-line block ×4, first 2 shown]
	ds_write2_b32 v43, v6, v7 offset1:78
	v_pack_b32_f16 v6, v15, v18
	v_pack_b32_f16 v7, v19, v22
	v_add_f16_e32 v35, v35, v39
	v_fma_f16 v31, v8, s15, v31
	v_add_f16_e32 v32, v32, v36
	v_add_f16_e32 v34, v34, v38
	ds_write2_b32 v43, v6, v7 offset0:156 offset1:234
	v_pack_b32_f16 v6, v23, v27
	v_pack_b32_f16 v7, v28, v33
	v_add_f16_e32 v31, v31, v35
	ds_write2_b32 v4, v6, v7 offset0:56 offset1:134
	v_pack_b32_f16 v6, v32, v34
	v_pack_b32_f16 v2, v2, v5
	ds_write2_b32 v3, v6, v2 offset0:84 offset1:162
	v_pack_b32_f16 v2, v26, v31
	v_pack_b32_f16 v5, v21, v25
	ds_write2_b32 v1, v2, v5 offset0:112 offset1:190
	v_pack_b32_f16 v2, v17, v20
	v_pack_b32_f16 v5, v13, v14
	ds_write2_b32 v0, v2, v5 offset0:12 offset1:90
	v_pack_b32_f16 v2, v10, v11
	ds_write_b32 v43, v2 offset:3744
	s_waitcnt lgkmcnt(0)
	s_barrier
	ds_read2_b32 v[5:6], v43 offset1:78
	s_mov_b32 s2, 0xfc7729e9
	s_mov_b32 s3, 0x3f502864
	v_mad_u64_u32 v[7:8], s[0:1], s6, v24, 0
	s_waitcnt lgkmcnt(0)
	v_lshrrev_b32_e32 v13, 16, v5
	v_mul_f16_sdwa v2, v57, v13 dst_sel:DWORD dst_unused:UNUSED_PAD src0_sel:WORD_1 src1_sel:DWORD
	v_fma_f16 v2, v57, v5, v2
	v_cvt_f32_f16_e32 v2, v2
	s_movk_i32 s6, 0x1ff
	v_mul_f16_sdwa v5, v57, v5 dst_sel:DWORD dst_unused:UNUSED_PAD src0_sel:WORD_1 src1_sel:DWORD
	v_fma_f16 v5, v57, v13, -v5
	v_cvt_f64_f32_e32 v[9:10], v2
	v_mov_b32_e32 v2, v8
	v_mad_u64_u32 v[11:12], s[0:1], s7, v24, v[2:3]
	v_mul_f64 v[9:10], v[9:10], s[2:3]
	s_movk_i32 s7, 0xffe
	v_mov_b32_e32 v8, v11
	v_cvt_f32_f16_e32 v5, v5
	s_movk_i32 s8, 0x40f
	s_mov_b32 s9, 0x8000
	v_lshlrev_b64 v[7:8], 2, v[7:8]
	v_and_or_b32 v2, v10, s6, v9
	v_cmp_ne_u32_e32 vcc, 0, v2
	v_cndmask_b32_e64 v2, 0, 1, vcc
	v_lshrrev_b32_e32 v9, 8, v10
	v_bfe_u32 v11, v10, 20, 11
	v_and_or_b32 v9, v9, s7, v2
	v_sub_u32_e32 v12, 0x3f1, v11
	v_or_b32_e32 v2, 0x1000, v9
	v_med3_i32 v12, v12, 0, 13
	v_lshrrev_b32_e32 v14, v12, v2
	v_lshlrev_b32_e32 v12, v12, v14
	v_cmp_ne_u32_e32 vcc, v12, v2
	v_cndmask_b32_e64 v2, 0, 1, vcc
	v_or_b32_e32 v2, v14, v2
	v_add_u32_e32 v14, 0xfffffc10, v11
	v_lshl_or_b32 v11, v14, 12, v9
	v_cmp_gt_i32_e32 vcc, 1, v14
	v_cndmask_b32_e32 v2, v11, v2, vcc
	v_and_b32_e32 v11, 7, v2
	v_cmp_lt_i32_e32 vcc, 5, v11
	v_cmp_eq_u32_e64 s[0:1], 3, v11
	v_cvt_f64_f32_e32 v[11:12], v5
	v_lshrrev_b32_e32 v2, 2, v2
	s_or_b64 vcc, s[0:1], vcc
	v_addc_co_u32_e32 v13, vcc, 0, v2, vcc
	v_mul_f64 v[11:12], v[11:12], s[2:3]
	v_mov_b32_e32 v2, 0x7c00
	v_cmp_gt_i32_e32 vcc, 31, v14
	v_cndmask_b32_e32 v5, v2, v13, vcc
	v_cmp_ne_u32_e32 vcc, 0, v9
	v_cndmask_b32_e64 v9, 0, 1, vcc
	v_lshl_or_b32 v9, v9, 9, v2
	v_cmp_eq_u32_e32 vcc, s8, v14
	v_cndmask_b32_e32 v5, v5, v9, vcc
	v_lshrrev_b32_e32 v9, 16, v10
	v_and_or_b32 v13, v9, s9, v5
	v_and_or_b32 v5, v12, s6, v11
	v_cmp_ne_u32_e32 vcc, 0, v5
	v_cndmask_b32_e64 v5, 0, 1, vcc
	v_lshrrev_b32_e32 v9, 8, v12
	v_bfe_u32 v10, v12, 20, 11
	v_and_or_b32 v5, v9, s7, v5
	v_sub_u32_e32 v11, 0x3f1, v10
	v_or_b32_e32 v9, 0x1000, v5
	v_med3_i32 v11, v11, 0, 13
	v_lshrrev_b32_e32 v14, v11, v9
	v_lshlrev_b32_e32 v11, v11, v14
	v_cmp_ne_u32_e32 vcc, v11, v9
	v_cndmask_b32_e64 v9, 0, 1, vcc
	v_add_u32_e32 v11, 0xfffffc10, v10
	v_or_b32_e32 v9, v14, v9
	v_lshl_or_b32 v10, v11, 12, v5
	v_cmp_gt_i32_e32 vcc, 1, v11
	v_cndmask_b32_e32 v9, v10, v9, vcc
	v_and_b32_e32 v10, 7, v9
	v_cmp_lt_i32_e32 vcc, 5, v10
	v_cmp_eq_u32_e64 s[0:1], 3, v10
	v_lshrrev_b32_e32 v9, 2, v9
	s_or_b64 vcc, s[0:1], vcc
	v_addc_co_u32_e32 v9, vcc, 0, v9, vcc
	v_cmp_gt_i32_e32 vcc, 31, v11
	v_cndmask_b32_e32 v14, v2, v9, vcc
	v_mad_u64_u32 v[9:10], s[0:1], s4, v55, 0
	v_cmp_ne_u32_e32 vcc, 0, v5
	v_cndmask_b32_e64 v5, 0, 1, vcc
	v_lshl_or_b32 v5, v5, 9, v2
	v_cmp_eq_u32_e32 vcc, s8, v11
	v_cndmask_b32_e32 v14, v14, v5, vcc
	v_mov_b32_e32 v5, v10
	v_mad_u64_u32 v[10:11], s[0:1], s5, v55, v[5:6]
	v_lshrrev_b32_e32 v5, 16, v6
	v_mul_f16_sdwa v11, v56, v5 dst_sel:DWORD dst_unused:UNUSED_PAD src0_sel:WORD_1 src1_sel:DWORD
	v_fma_f16 v11, v56, v6, v11
	v_cvt_f32_f16_e32 v11, v11
	v_lshrrev_b32_e32 v12, 16, v12
	v_and_or_b32 v14, v12, s9, v14
	v_and_b32_e32 v13, 0xffff, v13
	v_cvt_f64_f32_e32 v[11:12], v11
	v_lshl_or_b32 v13, v14, 16, v13
	v_mov_b32_e32 v14, s11
	v_add_co_u32_e32 v15, vcc, s10, v7
	v_mul_f64 v[11:12], v[11:12], s[2:3]
	v_addc_co_u32_e32 v14, vcc, v14, v8, vcc
	v_lshlrev_b64 v[7:8], 2, v[9:10]
	v_mul_f16_sdwa v6, v56, v6 dst_sel:DWORD dst_unused:UNUSED_PAD src0_sel:WORD_1 src1_sel:DWORD
	v_add_co_u32_e32 v7, vcc, v15, v7
	v_addc_co_u32_e32 v8, vcc, v14, v8, vcc
	v_and_or_b32 v9, v12, s6, v11
	v_cmp_ne_u32_e32 vcc, 0, v9
	v_fma_f16 v5, v56, v5, -v6
	v_cndmask_b32_e64 v9, 0, 1, vcc
	v_lshrrev_b32_e32 v10, 8, v12
	v_bfe_u32 v11, v12, 20, 11
	v_cvt_f32_f16_e32 v5, v5
	global_store_dword v[7:8], v13, off
	v_and_or_b32 v9, v10, s7, v9
	v_sub_u32_e32 v13, 0x3f1, v11
	v_or_b32_e32 v10, 0x1000, v9
	v_med3_i32 v13, v13, 0, 13
	v_lshrrev_b32_e32 v14, v13, v10
	v_lshlrev_b32_e32 v13, v13, v14
	v_cvt_f64_f32_e32 v[5:6], v5
	v_cmp_ne_u32_e32 vcc, v13, v10
	v_cndmask_b32_e64 v10, 0, 1, vcc
	v_add_u32_e32 v11, 0xfffffc10, v11
	v_or_b32_e32 v10, v14, v10
	v_lshl_or_b32 v13, v11, 12, v9
	v_cmp_gt_i32_e32 vcc, 1, v11
	v_cndmask_b32_e32 v10, v13, v10, vcc
	v_mul_f64 v[5:6], v[5:6], s[2:3]
	v_and_b32_e32 v13, 7, v10
	v_cmp_lt_i32_e32 vcc, 5, v13
	v_cmp_eq_u32_e64 s[0:1], 3, v13
	v_lshrrev_b32_e32 v10, 2, v10
	s_or_b64 vcc, s[0:1], vcc
	v_addc_co_u32_e32 v10, vcc, 0, v10, vcc
	v_cmp_gt_i32_e32 vcc, 31, v11
	v_cndmask_b32_e32 v10, v2, v10, vcc
	v_cmp_ne_u32_e32 vcc, 0, v9
	v_cndmask_b32_e64 v9, 0, 1, vcc
	v_lshl_or_b32 v9, v9, 9, v2
	v_cmp_eq_u32_e32 vcc, s8, v11
	v_and_or_b32 v5, v6, s6, v5
	v_cndmask_b32_e32 v9, v10, v9, vcc
	v_lshrrev_b32_e32 v10, 16, v12
	v_cmp_ne_u32_e32 vcc, 0, v5
	v_and_or_b32 v11, v10, s9, v9
	v_cndmask_b32_e64 v5, 0, 1, vcc
	v_lshrrev_b32_e32 v9, 8, v6
	v_bfe_u32 v10, v6, 20, 11
	v_and_or_b32 v5, v9, s7, v5
	v_sub_u32_e32 v12, 0x3f1, v10
	v_or_b32_e32 v9, 0x1000, v5
	v_med3_i32 v12, v12, 0, 13
	v_lshrrev_b32_e32 v13, v12, v9
	v_lshlrev_b32_e32 v12, v12, v13
	v_cmp_ne_u32_e32 vcc, v12, v9
	v_cndmask_b32_e64 v9, 0, 1, vcc
	v_add_u32_e32 v12, 0xfffffc10, v10
	v_or_b32_e32 v9, v13, v9
	v_lshl_or_b32 v10, v12, 12, v5
	v_cmp_gt_i32_e32 vcc, 1, v12
	v_cndmask_b32_e32 v9, v10, v9, vcc
	v_and_b32_e32 v10, 7, v9
	v_cmp_lt_i32_e32 vcc, 5, v10
	v_cmp_eq_u32_e64 s[0:1], 3, v10
	v_lshrrev_b32_e32 v9, 2, v9
	s_or_b64 vcc, s[0:1], vcc
	v_addc_co_u32_e32 v9, vcc, 0, v9, vcc
	v_cmp_gt_i32_e32 vcc, 31, v12
	v_cndmask_b32_e32 v13, v2, v9, vcc
	ds_read2_b32 v[9:10], v43 offset0:156 offset1:234
	v_cmp_ne_u32_e32 vcc, 0, v5
	v_cndmask_b32_e64 v5, 0, 1, vcc
	v_lshl_or_b32 v5, v5, 9, v2
	v_cmp_eq_u32_e32 vcc, s8, v12
	s_waitcnt lgkmcnt(0)
	v_lshrrev_b32_e32 v12, 16, v9
	v_cndmask_b32_e32 v5, v13, v5, vcc
	v_mul_f16_sdwa v13, v54, v12 dst_sel:DWORD dst_unused:UNUSED_PAD src0_sel:WORD_1 src1_sel:DWORD
	v_fma_f16 v13, v54, v9, v13
	v_cvt_f32_f16_e32 v13, v13
	v_lshrrev_b32_e32 v6, 16, v6
	v_and_or_b32 v5, v6, s9, v5
	v_and_b32_e32 v6, 0xffff, v11
	v_lshl_or_b32 v11, v5, 16, v6
	v_cvt_f64_f32_e32 v[5:6], v13
	s_mul_i32 s0, s5, 0x138
	s_mul_hi_u32 s5, s4, 0x138
	s_add_i32 s5, s5, s0
	v_mul_f64 v[5:6], v[5:6], s[2:3]
	s_mulk_i32 s4, 0x138
	v_mov_b32_e32 v13, s5
	v_add_co_u32_e32 v7, vcc, s4, v7
	v_addc_co_u32_e32 v8, vcc, v8, v13, vcc
	global_store_dword v[7:8], v11, off
	v_and_or_b32 v5, v6, s6, v5
	v_cmp_ne_u32_e32 vcc, 0, v5
	v_cndmask_b32_e64 v5, 0, 1, vcc
	v_lshrrev_b32_e32 v11, 8, v6
	v_bfe_u32 v13, v6, 20, 11
	v_and_or_b32 v5, v11, s7, v5
	v_sub_u32_e32 v14, 0x3f1, v13
	v_or_b32_e32 v11, 0x1000, v5
	v_med3_i32 v14, v14, 0, 13
	v_lshrrev_b32_e32 v15, v14, v11
	v_lshlrev_b32_e32 v14, v14, v15
	v_mul_f16_sdwa v9, v54, v9 dst_sel:DWORD dst_unused:UNUSED_PAD src0_sel:WORD_1 src1_sel:DWORD
	v_cmp_ne_u32_e32 vcc, v14, v11
	v_fma_f16 v9, v54, v12, -v9
	v_cndmask_b32_e64 v11, 0, 1, vcc
	v_add_u32_e32 v13, 0xfffffc10, v13
	v_cvt_f32_f16_e32 v9, v9
	v_or_b32_e32 v11, v15, v11
	v_lshl_or_b32 v14, v13, 12, v5
	v_cmp_gt_i32_e32 vcc, 1, v13
	v_cndmask_b32_e32 v11, v14, v11, vcc
	v_and_b32_e32 v14, 7, v11
	v_cmp_lt_i32_e32 vcc, 5, v14
	v_cmp_eq_u32_e64 s[0:1], 3, v14
	v_lshrrev_b32_e32 v14, 2, v11
	v_cvt_f64_f32_e32 v[11:12], v9
	s_or_b64 vcc, s[0:1], vcc
	v_addc_co_u32_e32 v9, vcc, 0, v14, vcc
	v_mul_f64 v[11:12], v[11:12], s[2:3]
	v_cmp_gt_i32_e32 vcc, 31, v13
	v_cndmask_b32_e32 v9, v2, v9, vcc
	v_cmp_ne_u32_e32 vcc, 0, v5
	v_cndmask_b32_e64 v5, 0, 1, vcc
	v_lshl_or_b32 v5, v5, 9, v2
	v_cmp_eq_u32_e32 vcc, s8, v13
	v_cndmask_b32_e32 v5, v9, v5, vcc
	v_lshrrev_b32_e32 v6, 16, v6
	v_and_or_b32 v9, v6, s9, v5
	v_and_or_b32 v5, v12, s6, v11
	v_cmp_ne_u32_e32 vcc, 0, v5
	v_cndmask_b32_e64 v5, 0, 1, vcc
	v_lshrrev_b32_e32 v6, 8, v12
	v_bfe_u32 v11, v12, 20, 11
	v_and_or_b32 v5, v6, s7, v5
	v_sub_u32_e32 v13, 0x3f1, v11
	v_or_b32_e32 v6, 0x1000, v5
	v_med3_i32 v13, v13, 0, 13
	v_lshrrev_b32_e32 v14, v13, v6
	v_lshlrev_b32_e32 v13, v13, v14
	v_cmp_ne_u32_e32 vcc, v13, v6
	v_cndmask_b32_e64 v6, 0, 1, vcc
	v_add_u32_e32 v11, 0xfffffc10, v11
	v_or_b32_e32 v6, v14, v6
	v_lshl_or_b32 v13, v11, 12, v5
	v_cmp_gt_i32_e32 vcc, 1, v11
	v_cndmask_b32_e32 v6, v13, v6, vcc
	v_and_b32_e32 v13, 7, v6
	v_cmp_lt_i32_e32 vcc, 5, v13
	v_cmp_eq_u32_e64 s[0:1], 3, v13
	v_lshrrev_b32_e32 v13, 16, v10
	v_lshrrev_b32_e32 v6, 2, v6
	s_or_b64 vcc, s[0:1], vcc
	v_mul_f16_sdwa v14, v53, v13 dst_sel:DWORD dst_unused:UNUSED_PAD src0_sel:WORD_1 src1_sel:DWORD
	v_addc_co_u32_e32 v6, vcc, 0, v6, vcc
	v_fma_f16 v14, v53, v10, v14
	v_cmp_gt_i32_e32 vcc, 31, v11
	v_cvt_f32_f16_e32 v14, v14
	v_cndmask_b32_e32 v6, v2, v6, vcc
	v_cmp_ne_u32_e32 vcc, 0, v5
	v_cndmask_b32_e64 v5, 0, 1, vcc
	v_lshl_or_b32 v5, v5, 9, v2
	v_cmp_eq_u32_e32 vcc, s8, v11
	v_cndmask_b32_e32 v11, v6, v5, vcc
	v_cvt_f64_f32_e32 v[5:6], v14
	v_lshrrev_b32_e32 v12, 16, v12
	v_and_or_b32 v11, v12, s9, v11
	v_and_b32_e32 v9, 0xffff, v9
	v_mul_f64 v[5:6], v[5:6], s[2:3]
	v_lshl_or_b32 v9, v11, 16, v9
	v_mov_b32_e32 v11, s5
	v_add_co_u32_e32 v7, vcc, s4, v7
	v_addc_co_u32_e32 v8, vcc, v8, v11, vcc
	global_store_dword v[7:8], v9, off
	v_and_or_b32 v5, v6, s6, v5
	v_cmp_ne_u32_e32 vcc, 0, v5
	v_cndmask_b32_e64 v5, 0, 1, vcc
	v_lshrrev_b32_e32 v9, 8, v6
	v_bfe_u32 v11, v6, 20, 11
	v_and_or_b32 v5, v9, s7, v5
	v_sub_u32_e32 v12, 0x3f1, v11
	v_or_b32_e32 v9, 0x1000, v5
	v_med3_i32 v12, v12, 0, 13
	v_lshrrev_b32_e32 v14, v12, v9
	v_lshlrev_b32_e32 v12, v12, v14
	v_mul_f16_sdwa v10, v53, v10 dst_sel:DWORD dst_unused:UNUSED_PAD src0_sel:WORD_1 src1_sel:DWORD
	v_cmp_ne_u32_e32 vcc, v12, v9
	v_fma_f16 v10, v53, v13, -v10
	v_cndmask_b32_e64 v9, 0, 1, vcc
	v_add_u32_e32 v11, 0xfffffc10, v11
	v_cvt_f32_f16_e32 v10, v10
	v_or_b32_e32 v9, v14, v9
	v_lshl_or_b32 v12, v11, 12, v5
	v_cmp_gt_i32_e32 vcc, 1, v11
	v_cndmask_b32_e32 v9, v12, v9, vcc
	v_and_b32_e32 v12, 7, v9
	v_cmp_lt_i32_e32 vcc, 5, v12
	v_cmp_eq_u32_e64 s[0:1], 3, v12
	v_lshrrev_b32_e32 v12, 2, v9
	v_cvt_f64_f32_e32 v[9:10], v10
	s_or_b64 vcc, s[0:1], vcc
	v_addc_co_u32_e32 v12, vcc, 0, v12, vcc
	v_mul_f64 v[9:10], v[9:10], s[2:3]
	v_cmp_gt_i32_e32 vcc, 31, v11
	v_cndmask_b32_e32 v12, v2, v12, vcc
	v_cmp_ne_u32_e32 vcc, 0, v5
	v_cndmask_b32_e64 v5, 0, 1, vcc
	v_lshl_or_b32 v5, v5, 9, v2
	v_cmp_eq_u32_e32 vcc, s8, v11
	v_cndmask_b32_e32 v5, v12, v5, vcc
	v_lshrrev_b32_e32 v6, 16, v6
	v_and_or_b32 v6, v6, s9, v5
	v_and_or_b32 v5, v10, s6, v9
	v_cmp_ne_u32_e32 vcc, 0, v5
	v_cndmask_b32_e64 v5, 0, 1, vcc
	v_lshrrev_b32_e32 v9, 8, v10
	v_bfe_u32 v11, v10, 20, 11
	v_and_or_b32 v9, v9, s7, v5
	v_sub_u32_e32 v12, 0x3f1, v11
	v_or_b32_e32 v5, 0x1000, v9
	v_med3_i32 v12, v12, 0, 13
	v_lshrrev_b32_e32 v13, v12, v5
	v_lshlrev_b32_e32 v12, v12, v13
	v_cmp_ne_u32_e32 vcc, v12, v5
	v_cndmask_b32_e64 v5, 0, 1, vcc
	v_add_u32_e32 v11, 0xfffffc10, v11
	v_or_b32_e32 v5, v13, v5
	v_lshl_or_b32 v12, v11, 12, v9
	v_cmp_gt_i32_e32 vcc, 1, v11
	v_cndmask_b32_e32 v5, v12, v5, vcc
	v_and_b32_e32 v12, 7, v5
	v_cmp_lt_i32_e32 vcc, 5, v12
	v_cmp_eq_u32_e64 s[0:1], 3, v12
	v_lshrrev_b32_e32 v5, 2, v5
	s_or_b64 vcc, s[0:1], vcc
	v_addc_co_u32_e32 v12, vcc, 0, v5, vcc
	ds_read2_b32 v[4:5], v4 offset0:56 offset1:134
	v_cmp_gt_i32_e32 vcc, 31, v11
	v_cndmask_b32_e32 v12, v2, v12, vcc
	v_cmp_ne_u32_e32 vcc, 0, v9
	v_cndmask_b32_e64 v9, 0, 1, vcc
	s_waitcnt lgkmcnt(0)
	v_lshrrev_b32_e32 v13, 16, v4
	v_mul_f16_sdwa v14, v52, v13 dst_sel:DWORD dst_unused:UNUSED_PAD src0_sel:WORD_1 src1_sel:DWORD
	v_fma_f16 v14, v52, v4, v14
	v_cvt_f32_f16_e32 v14, v14
	v_lshl_or_b32 v9, v9, 9, v2
	v_cmp_eq_u32_e32 vcc, s8, v11
	v_cndmask_b32_e32 v9, v12, v9, vcc
	v_cvt_f64_f32_e32 v[11:12], v14
	v_lshrrev_b32_e32 v10, 16, v10
	v_and_or_b32 v14, v10, s9, v9
	v_and_b32_e32 v6, 0xffff, v6
	v_mul_f64 v[9:10], v[11:12], s[2:3]
	v_lshl_or_b32 v11, v14, 16, v6
	v_mov_b32_e32 v12, s5
	v_add_co_u32_e32 v6, vcc, s4, v7
	v_addc_co_u32_e32 v7, vcc, v8, v12, vcc
	global_store_dword v[6:7], v11, off
	v_and_or_b32 v8, v10, s6, v9
	v_cmp_ne_u32_e32 vcc, 0, v8
	v_cndmask_b32_e64 v8, 0, 1, vcc
	v_lshrrev_b32_e32 v9, 8, v10
	v_and_or_b32 v11, v9, s7, v8
	v_bfe_u32 v9, v10, 20, 11
	v_sub_u32_e32 v12, 0x3f1, v9
	v_or_b32_e32 v8, 0x1000, v11
	v_med3_i32 v12, v12, 0, 13
	v_lshrrev_b32_e32 v14, v12, v8
	v_lshlrev_b32_e32 v12, v12, v14
	v_mul_f16_sdwa v4, v52, v4 dst_sel:DWORD dst_unused:UNUSED_PAD src0_sel:WORD_1 src1_sel:DWORD
	v_cmp_ne_u32_e32 vcc, v12, v8
	v_fma_f16 v4, v52, v13, -v4
	v_cndmask_b32_e64 v8, 0, 1, vcc
	v_add_u32_e32 v12, 0xfffffc10, v9
	v_cvt_f32_f16_e32 v4, v4
	v_or_b32_e32 v8, v14, v8
	v_lshl_or_b32 v9, v12, 12, v11
	v_cmp_gt_i32_e32 vcc, 1, v12
	v_cndmask_b32_e32 v8, v9, v8, vcc
	v_and_b32_e32 v9, 7, v8
	v_cmp_lt_i32_e32 vcc, 5, v9
	v_cmp_eq_u32_e64 s[0:1], 3, v9
	v_lshrrev_b32_e32 v13, 2, v8
	v_cvt_f64_f32_e32 v[8:9], v4
	s_or_b64 vcc, s[0:1], vcc
	v_addc_co_u32_e32 v4, vcc, 0, v13, vcc
	v_mul_f64 v[8:9], v[8:9], s[2:3]
	v_cmp_gt_i32_e32 vcc, 31, v12
	v_cndmask_b32_e32 v4, v2, v4, vcc
	v_cmp_ne_u32_e32 vcc, 0, v11
	v_cndmask_b32_e64 v11, 0, 1, vcc
	v_lshl_or_b32 v11, v11, 9, v2
	v_cmp_eq_u32_e32 vcc, s8, v12
	v_cndmask_b32_e32 v4, v4, v11, vcc
	v_and_or_b32 v8, v9, s6, v8
	v_lshrrev_b32_e32 v10, 16, v10
	v_cmp_ne_u32_e32 vcc, 0, v8
	v_and_or_b32 v4, v10, s9, v4
	v_cndmask_b32_e64 v8, 0, 1, vcc
	v_lshrrev_b32_e32 v10, 8, v9
	v_bfe_u32 v11, v9, 20, 11
	v_and_or_b32 v8, v10, s7, v8
	v_sub_u32_e32 v12, 0x3f1, v11
	v_or_b32_e32 v10, 0x1000, v8
	v_med3_i32 v12, v12, 0, 13
	v_lshrrev_b32_e32 v13, v12, v10
	v_lshlrev_b32_e32 v12, v12, v13
	v_cmp_ne_u32_e32 vcc, v12, v10
	v_cndmask_b32_e64 v10, 0, 1, vcc
	v_add_u32_e32 v11, 0xfffffc10, v11
	v_or_b32_e32 v10, v13, v10
	v_lshl_or_b32 v12, v11, 12, v8
	v_cmp_gt_i32_e32 vcc, 1, v11
	v_cndmask_b32_e32 v10, v12, v10, vcc
	v_and_b32_e32 v12, 7, v10
	v_cmp_lt_i32_e32 vcc, 5, v12
	v_cmp_eq_u32_e64 s[0:1], 3, v12
	v_lshrrev_b32_e32 v12, 16, v5
	v_lshrrev_b32_e32 v10, 2, v10
	s_or_b64 vcc, s[0:1], vcc
	v_mul_f16_sdwa v13, v51, v12 dst_sel:DWORD dst_unused:UNUSED_PAD src0_sel:WORD_1 src1_sel:DWORD
	v_addc_co_u32_e32 v10, vcc, 0, v10, vcc
	v_fma_f16 v13, v51, v5, v13
	v_cmp_gt_i32_e32 vcc, 31, v11
	v_cvt_f32_f16_e32 v13, v13
	v_cndmask_b32_e32 v10, v2, v10, vcc
	v_cmp_ne_u32_e32 vcc, 0, v8
	v_cndmask_b32_e64 v8, 0, 1, vcc
	v_lshl_or_b32 v8, v8, 9, v2
	v_cmp_eq_u32_e32 vcc, s8, v11
	v_cndmask_b32_e32 v8, v10, v8, vcc
	v_cvt_f64_f32_e32 v[10:11], v13
	v_lshrrev_b32_e32 v9, 16, v9
	v_and_or_b32 v13, v9, s9, v8
	v_and_b32_e32 v4, 0xffff, v4
	v_mul_f64 v[8:9], v[10:11], s[2:3]
	v_mov_b32_e32 v10, s5
	v_add_co_u32_e32 v6, vcc, s4, v6
	v_lshl_or_b32 v4, v13, 16, v4
	v_addc_co_u32_e32 v7, vcc, v7, v10, vcc
	global_store_dword v[6:7], v4, off
	v_and_or_b32 v4, v9, s6, v8
	v_cmp_ne_u32_e32 vcc, 0, v4
	v_cndmask_b32_e64 v4, 0, 1, vcc
	v_lshrrev_b32_e32 v8, 8, v9
	v_bfe_u32 v10, v9, 20, 11
	v_and_or_b32 v8, v8, s7, v4
	v_sub_u32_e32 v11, 0x3f1, v10
	v_or_b32_e32 v4, 0x1000, v8
	v_med3_i32 v11, v11, 0, 13
	v_lshrrev_b32_e32 v13, v11, v4
	v_lshlrev_b32_e32 v11, v11, v13
	v_mul_f16_sdwa v5, v51, v5 dst_sel:DWORD dst_unused:UNUSED_PAD src0_sel:WORD_1 src1_sel:DWORD
	v_cmp_ne_u32_e32 vcc, v11, v4
	v_fma_f16 v5, v51, v12, -v5
	v_cndmask_b32_e64 v4, 0, 1, vcc
	v_add_u32_e32 v10, 0xfffffc10, v10
	v_cvt_f32_f16_e32 v5, v5
	v_or_b32_e32 v4, v13, v4
	v_lshl_or_b32 v11, v10, 12, v8
	v_cmp_gt_i32_e32 vcc, 1, v10
	v_cndmask_b32_e32 v4, v11, v4, vcc
	v_and_b32_e32 v11, 7, v4
	v_cmp_lt_i32_e32 vcc, 5, v11
	v_cmp_eq_u32_e64 s[0:1], 3, v11
	v_lshrrev_b32_e32 v11, 2, v4
	v_cvt_f64_f32_e32 v[4:5], v5
	s_or_b64 vcc, s[0:1], vcc
	v_addc_co_u32_e32 v11, vcc, 0, v11, vcc
	v_mul_f64 v[4:5], v[4:5], s[2:3]
	v_cmp_gt_i32_e32 vcc, 31, v10
	v_cndmask_b32_e32 v11, v2, v11, vcc
	v_cmp_ne_u32_e32 vcc, 0, v8
	v_cndmask_b32_e64 v8, 0, 1, vcc
	v_lshl_or_b32 v8, v8, 9, v2
	v_cmp_eq_u32_e32 vcc, s8, v10
	v_cndmask_b32_e32 v8, v11, v8, vcc
	v_and_or_b32 v4, v5, s6, v4
	v_lshrrev_b32_e32 v9, 16, v9
	v_cmp_ne_u32_e32 vcc, 0, v4
	v_and_or_b32 v10, v9, s9, v8
	v_cndmask_b32_e64 v4, 0, 1, vcc
	v_lshrrev_b32_e32 v8, 8, v5
	v_bfe_u32 v9, v5, 20, 11
	v_and_or_b32 v8, v8, s7, v4
	v_sub_u32_e32 v11, 0x3f1, v9
	v_or_b32_e32 v4, 0x1000, v8
	v_med3_i32 v11, v11, 0, 13
	v_lshrrev_b32_e32 v12, v11, v4
	v_lshlrev_b32_e32 v11, v11, v12
	v_cmp_ne_u32_e32 vcc, v11, v4
	v_cndmask_b32_e64 v4, 0, 1, vcc
	v_add_u32_e32 v9, 0xfffffc10, v9
	v_or_b32_e32 v4, v12, v4
	v_lshl_or_b32 v11, v9, 12, v8
	v_cmp_gt_i32_e32 vcc, 1, v9
	v_cndmask_b32_e32 v4, v11, v4, vcc
	v_and_b32_e32 v11, 7, v4
	v_cmp_lt_i32_e32 vcc, 5, v11
	v_cmp_eq_u32_e64 s[0:1], 3, v11
	v_lshrrev_b32_e32 v4, 2, v4
	s_or_b64 vcc, s[0:1], vcc
	v_addc_co_u32_e32 v11, vcc, 0, v4, vcc
	ds_read2_b32 v[3:4], v3 offset0:84 offset1:162
	v_cmp_gt_i32_e32 vcc, 31, v9
	v_cndmask_b32_e32 v11, v2, v11, vcc
	v_cmp_ne_u32_e32 vcc, 0, v8
	v_cndmask_b32_e64 v8, 0, 1, vcc
	s_waitcnt lgkmcnt(0)
	v_lshrrev_b32_e32 v12, 16, v3
	v_mul_f16_sdwa v13, v50, v12 dst_sel:DWORD dst_unused:UNUSED_PAD src0_sel:WORD_1 src1_sel:DWORD
	v_fma_f16 v13, v50, v3, v13
	v_cvt_f32_f16_e32 v13, v13
	v_lshl_or_b32 v8, v8, 9, v2
	v_cmp_eq_u32_e32 vcc, s8, v9
	v_cndmask_b32_e32 v11, v11, v8, vcc
	v_cvt_f64_f32_e32 v[8:9], v13
	v_lshrrev_b32_e32 v5, 16, v5
	v_and_or_b32 v5, v5, s9, v11
	v_and_b32_e32 v10, 0xffff, v10
	v_mul_f64 v[8:9], v[8:9], s[2:3]
	v_lshl_or_b32 v10, v5, 16, v10
	v_mov_b32_e32 v11, s5
	v_add_co_u32_e32 v5, vcc, s4, v6
	v_addc_co_u32_e32 v6, vcc, v7, v11, vcc
	global_store_dword v[5:6], v10, off
	v_and_or_b32 v7, v9, s6, v8
	v_cmp_ne_u32_e32 vcc, 0, v7
	v_cndmask_b32_e64 v7, 0, 1, vcc
	v_lshrrev_b32_e32 v8, 8, v9
	v_and_or_b32 v10, v8, s7, v7
	v_bfe_u32 v8, v9, 20, 11
	v_sub_u32_e32 v11, 0x3f1, v8
	v_or_b32_e32 v7, 0x1000, v10
	v_med3_i32 v11, v11, 0, 13
	v_lshrrev_b32_e32 v13, v11, v7
	v_lshlrev_b32_e32 v11, v11, v13
	v_mul_f16_sdwa v3, v50, v3 dst_sel:DWORD dst_unused:UNUSED_PAD src0_sel:WORD_1 src1_sel:DWORD
	v_cmp_ne_u32_e32 vcc, v11, v7
	v_fma_f16 v3, v50, v12, -v3
	v_cndmask_b32_e64 v7, 0, 1, vcc
	v_add_u32_e32 v11, 0xfffffc10, v8
	v_cvt_f32_f16_e32 v3, v3
	v_or_b32_e32 v7, v13, v7
	v_lshl_or_b32 v8, v11, 12, v10
	v_cmp_gt_i32_e32 vcc, 1, v11
	v_cndmask_b32_e32 v7, v8, v7, vcc
	v_and_b32_e32 v8, 7, v7
	v_cmp_lt_i32_e32 vcc, 5, v8
	v_cmp_eq_u32_e64 s[0:1], 3, v8
	v_lshrrev_b32_e32 v12, 2, v7
	v_cvt_f64_f32_e32 v[7:8], v3
	s_or_b64 vcc, s[0:1], vcc
	v_addc_co_u32_e32 v3, vcc, 0, v12, vcc
	v_mul_f64 v[7:8], v[7:8], s[2:3]
	v_cmp_gt_i32_e32 vcc, 31, v11
	v_cndmask_b32_e32 v3, v2, v3, vcc
	v_cmp_ne_u32_e32 vcc, 0, v10
	v_cndmask_b32_e64 v10, 0, 1, vcc
	v_lshl_or_b32 v10, v10, 9, v2
	v_cmp_eq_u32_e32 vcc, s8, v11
	v_cndmask_b32_e32 v3, v3, v10, vcc
	v_and_or_b32 v7, v8, s6, v7
	v_lshrrev_b32_e32 v9, 16, v9
	v_cmp_ne_u32_e32 vcc, 0, v7
	v_and_or_b32 v3, v9, s9, v3
	v_cndmask_b32_e64 v7, 0, 1, vcc
	v_lshrrev_b32_e32 v9, 8, v8
	v_bfe_u32 v10, v8, 20, 11
	v_and_or_b32 v7, v9, s7, v7
	v_sub_u32_e32 v11, 0x3f1, v10
	v_or_b32_e32 v9, 0x1000, v7
	v_med3_i32 v11, v11, 0, 13
	v_lshrrev_b32_e32 v12, v11, v9
	v_lshlrev_b32_e32 v11, v11, v12
	v_cmp_ne_u32_e32 vcc, v11, v9
	v_cndmask_b32_e64 v9, 0, 1, vcc
	v_add_u32_e32 v10, 0xfffffc10, v10
	v_or_b32_e32 v9, v12, v9
	v_lshl_or_b32 v11, v10, 12, v7
	v_cmp_gt_i32_e32 vcc, 1, v10
	v_cndmask_b32_e32 v9, v11, v9, vcc
	v_and_b32_e32 v11, 7, v9
	v_cmp_lt_i32_e32 vcc, 5, v11
	v_cmp_eq_u32_e64 s[0:1], 3, v11
	v_lshrrev_b32_e32 v11, 16, v4
	v_lshrrev_b32_e32 v9, 2, v9
	s_or_b64 vcc, s[0:1], vcc
	v_mul_f16_sdwa v12, v49, v11 dst_sel:DWORD dst_unused:UNUSED_PAD src0_sel:WORD_1 src1_sel:DWORD
	v_addc_co_u32_e32 v9, vcc, 0, v9, vcc
	v_fma_f16 v12, v49, v4, v12
	v_cmp_gt_i32_e32 vcc, 31, v10
	v_cvt_f32_f16_e32 v12, v12
	v_cndmask_b32_e32 v9, v2, v9, vcc
	v_cmp_ne_u32_e32 vcc, 0, v7
	v_cndmask_b32_e64 v7, 0, 1, vcc
	v_lshl_or_b32 v7, v7, 9, v2
	v_cmp_eq_u32_e32 vcc, s8, v10
	v_cndmask_b32_e32 v7, v9, v7, vcc
	v_cvt_f64_f32_e32 v[9:10], v12
	v_lshrrev_b32_e32 v8, 16, v8
	v_and_or_b32 v12, v8, s9, v7
	v_and_b32_e32 v3, 0xffff, v3
	v_mul_f64 v[7:8], v[9:10], s[2:3]
	v_mov_b32_e32 v9, s5
	v_add_co_u32_e32 v5, vcc, s4, v5
	v_lshl_or_b32 v3, v12, 16, v3
	v_addc_co_u32_e32 v6, vcc, v6, v9, vcc
	global_store_dword v[5:6], v3, off
	v_and_or_b32 v3, v8, s6, v7
	v_cmp_ne_u32_e32 vcc, 0, v3
	v_cndmask_b32_e64 v3, 0, 1, vcc
	v_lshrrev_b32_e32 v7, 8, v8
	v_bfe_u32 v9, v8, 20, 11
	v_and_or_b32 v7, v7, s7, v3
	v_sub_u32_e32 v10, 0x3f1, v9
	v_or_b32_e32 v3, 0x1000, v7
	v_med3_i32 v10, v10, 0, 13
	v_lshrrev_b32_e32 v12, v10, v3
	v_lshlrev_b32_e32 v10, v10, v12
	v_mul_f16_sdwa v4, v49, v4 dst_sel:DWORD dst_unused:UNUSED_PAD src0_sel:WORD_1 src1_sel:DWORD
	v_cmp_ne_u32_e32 vcc, v10, v3
	v_fma_f16 v4, v49, v11, -v4
	v_cndmask_b32_e64 v3, 0, 1, vcc
	v_add_u32_e32 v9, 0xfffffc10, v9
	v_cvt_f32_f16_e32 v4, v4
	v_or_b32_e32 v3, v12, v3
	v_lshl_or_b32 v10, v9, 12, v7
	v_cmp_gt_i32_e32 vcc, 1, v9
	v_cndmask_b32_e32 v3, v10, v3, vcc
	v_and_b32_e32 v10, 7, v3
	v_cmp_lt_i32_e32 vcc, 5, v10
	v_cmp_eq_u32_e64 s[0:1], 3, v10
	v_lshrrev_b32_e32 v10, 2, v3
	v_cvt_f64_f32_e32 v[3:4], v4
	s_or_b64 vcc, s[0:1], vcc
	v_addc_co_u32_e32 v10, vcc, 0, v10, vcc
	v_mul_f64 v[3:4], v[3:4], s[2:3]
	v_cmp_gt_i32_e32 vcc, 31, v9
	v_cndmask_b32_e32 v10, v2, v10, vcc
	v_cmp_ne_u32_e32 vcc, 0, v7
	v_cndmask_b32_e64 v7, 0, 1, vcc
	v_lshl_or_b32 v7, v7, 9, v2
	v_cmp_eq_u32_e32 vcc, s8, v9
	v_cndmask_b32_e32 v7, v10, v7, vcc
	v_and_or_b32 v3, v4, s6, v3
	v_lshrrev_b32_e32 v8, 16, v8
	v_cmp_ne_u32_e32 vcc, 0, v3
	v_and_or_b32 v11, v8, s9, v7
	v_cndmask_b32_e64 v3, 0, 1, vcc
	v_lshrrev_b32_e32 v7, 8, v4
	v_bfe_u32 v8, v4, 20, 11
	v_and_or_b32 v3, v7, s7, v3
	v_sub_u32_e32 v9, 0x3f1, v8
	v_or_b32_e32 v7, 0x1000, v3
	v_med3_i32 v9, v9, 0, 13
	v_lshrrev_b32_e32 v10, v9, v7
	v_lshlrev_b32_e32 v9, v9, v10
	v_cmp_ne_u32_e32 vcc, v9, v7
	v_cndmask_b32_e64 v7, 0, 1, vcc
	v_add_u32_e32 v9, 0xfffffc10, v8
	v_or_b32_e32 v7, v10, v7
	v_lshl_or_b32 v8, v9, 12, v3
	v_cmp_gt_i32_e32 vcc, 1, v9
	v_cndmask_b32_e32 v7, v8, v7, vcc
	v_and_b32_e32 v8, 7, v7
	v_cmp_lt_i32_e32 vcc, 5, v8
	v_cmp_eq_u32_e64 s[0:1], 3, v8
	v_lshrrev_b32_e32 v7, 2, v7
	s_or_b64 vcc, s[0:1], vcc
	v_addc_co_u32_e32 v10, vcc, 0, v7, vcc
	ds_read2_b32 v[7:8], v1 offset0:112 offset1:190
	v_cmp_gt_i32_e32 vcc, 31, v9
	v_cndmask_b32_e32 v1, v2, v10, vcc
	v_cmp_ne_u32_e32 vcc, 0, v3
	v_cndmask_b32_e64 v3, 0, 1, vcc
	s_waitcnt lgkmcnt(0)
	v_lshrrev_b32_e32 v12, 16, v7
	v_mul_f16_sdwa v10, v48, v12 dst_sel:DWORD dst_unused:UNUSED_PAD src0_sel:WORD_1 src1_sel:DWORD
	v_fma_f16 v10, v48, v7, v10
	v_cvt_f32_f16_e32 v10, v10
	v_cmp_eq_u32_e32 vcc, s8, v9
	v_lshl_or_b32 v3, v3, 9, v2
	v_cndmask_b32_e32 v1, v1, v3, vcc
	v_cvt_f64_f32_e32 v[9:10], v10
	v_lshrrev_b32_e32 v3, 16, v4
	v_and_or_b32 v1, v3, s9, v1
	v_and_b32_e32 v11, 0xffff, v11
	v_mul_f64 v[3:4], v[9:10], s[2:3]
	v_mov_b32_e32 v9, s5
	v_add_co_u32_e32 v5, vcc, s4, v5
	v_lshl_or_b32 v1, v1, 16, v11
	v_addc_co_u32_e32 v6, vcc, v6, v9, vcc
	global_store_dword v[5:6], v1, off
	v_and_or_b32 v1, v4, s6, v3
	v_cmp_ne_u32_e32 vcc, 0, v1
	v_cndmask_b32_e64 v1, 0, 1, vcc
	v_lshrrev_b32_e32 v3, 8, v4
	v_bfe_u32 v9, v4, 20, 11
	v_and_or_b32 v1, v3, s7, v1
	v_sub_u32_e32 v10, 0x3f1, v9
	v_or_b32_e32 v3, 0x1000, v1
	v_med3_i32 v10, v10, 0, 13
	v_lshrrev_b32_e32 v11, v10, v3
	v_lshlrev_b32_e32 v10, v10, v11
	v_cmp_ne_u32_e32 vcc, v10, v3
	v_mul_f16_sdwa v7, v48, v7 dst_sel:DWORD dst_unused:UNUSED_PAD src0_sel:WORD_1 src1_sel:DWORD
	v_cndmask_b32_e64 v3, 0, 1, vcc
	v_fma_f16 v7, v48, v12, -v7
	v_or_b32_e32 v3, v11, v3
	v_add_u32_e32 v11, 0xfffffc10, v9
	v_cvt_f32_f16_e32 v7, v7
	v_lshl_or_b32 v9, v11, 12, v1
	v_cmp_gt_i32_e32 vcc, 1, v11
	v_cndmask_b32_e32 v3, v9, v3, vcc
	v_and_b32_e32 v9, 7, v3
	v_cmp_lt_i32_e32 vcc, 5, v9
	v_cmp_eq_u32_e64 s[0:1], 3, v9
	v_cvt_f64_f32_e32 v[9:10], v7
	v_lshrrev_b32_e32 v3, 2, v3
	s_or_b64 vcc, s[0:1], vcc
	v_addc_co_u32_e32 v3, vcc, 0, v3, vcc
	v_mul_f64 v[9:10], v[9:10], s[2:3]
	v_cmp_gt_i32_e32 vcc, 31, v11
	v_cndmask_b32_e32 v3, v2, v3, vcc
	v_cmp_ne_u32_e32 vcc, 0, v1
	v_cndmask_b32_e64 v1, 0, 1, vcc
	v_lshl_or_b32 v1, v1, 9, v2
	v_cmp_eq_u32_e32 vcc, s8, v11
	v_cndmask_b32_e32 v1, v3, v1, vcc
	v_lshrrev_b32_e32 v3, 16, v4
	v_and_or_b32 v1, v3, s9, v1
	v_and_or_b32 v3, v10, s6, v9
	v_cmp_ne_u32_e32 vcc, 0, v3
	v_cndmask_b32_e64 v3, 0, 1, vcc
	v_lshrrev_b32_e32 v4, 8, v10
	v_bfe_u32 v7, v10, 20, 11
	v_and_or_b32 v3, v4, s7, v3
	v_sub_u32_e32 v9, 0x3f1, v7
	v_or_b32_e32 v4, 0x1000, v3
	v_med3_i32 v9, v9, 0, 13
	v_lshrrev_b32_e32 v11, v9, v4
	v_lshlrev_b32_e32 v9, v9, v11
	v_cmp_ne_u32_e32 vcc, v9, v4
	v_cndmask_b32_e64 v4, 0, 1, vcc
	v_add_u32_e32 v7, 0xfffffc10, v7
	v_or_b32_e32 v4, v11, v4
	v_lshl_or_b32 v9, v7, 12, v3
	v_cmp_gt_i32_e32 vcc, 1, v7
	v_cndmask_b32_e32 v4, v9, v4, vcc
	v_and_b32_e32 v9, 7, v4
	v_cmp_lt_i32_e32 vcc, 5, v9
	v_cmp_eq_u32_e64 s[0:1], 3, v9
	v_lshrrev_b32_e32 v9, 16, v8
	v_lshrrev_b32_e32 v4, 2, v4
	s_or_b64 vcc, s[0:1], vcc
	v_mul_f16_sdwa v11, v47, v9 dst_sel:DWORD dst_unused:UNUSED_PAD src0_sel:WORD_1 src1_sel:DWORD
	v_addc_co_u32_e32 v4, vcc, 0, v4, vcc
	v_fma_f16 v11, v47, v8, v11
	v_cmp_gt_i32_e32 vcc, 31, v7
	v_cvt_f32_f16_e32 v11, v11
	v_cndmask_b32_e32 v4, v2, v4, vcc
	v_cmp_ne_u32_e32 vcc, 0, v3
	v_cndmask_b32_e64 v3, 0, 1, vcc
	v_lshl_or_b32 v3, v3, 9, v2
	v_cmp_eq_u32_e32 vcc, s8, v7
	v_cndmask_b32_e32 v7, v4, v3, vcc
	v_cvt_f64_f32_e32 v[3:4], v11
	v_lshrrev_b32_e32 v10, 16, v10
	v_and_or_b32 v7, v10, s9, v7
	v_and_b32_e32 v1, 0xffff, v1
	v_mul_f64 v[3:4], v[3:4], s[2:3]
	v_lshl_or_b32 v1, v7, 16, v1
	v_mov_b32_e32 v7, s5
	v_add_co_u32_e32 v5, vcc, s4, v5
	v_addc_co_u32_e32 v6, vcc, v6, v7, vcc
	global_store_dword v[5:6], v1, off
	v_and_or_b32 v1, v4, s6, v3
	v_cmp_ne_u32_e32 vcc, 0, v1
	v_cndmask_b32_e64 v1, 0, 1, vcc
	v_lshrrev_b32_e32 v3, 8, v4
	v_bfe_u32 v7, v4, 20, 11
	v_and_or_b32 v1, v3, s7, v1
	v_sub_u32_e32 v10, 0x3f1, v7
	v_or_b32_e32 v3, 0x1000, v1
	v_med3_i32 v10, v10, 0, 13
	v_lshrrev_b32_e32 v11, v10, v3
	v_lshlrev_b32_e32 v10, v10, v11
	v_mul_f16_sdwa v8, v47, v8 dst_sel:DWORD dst_unused:UNUSED_PAD src0_sel:WORD_1 src1_sel:DWORD
	v_cmp_ne_u32_e32 vcc, v10, v3
	v_fma_f16 v8, v47, v9, -v8
	v_cndmask_b32_e64 v3, 0, 1, vcc
	v_add_u32_e32 v10, 0xfffffc10, v7
	v_cvt_f32_f16_e32 v8, v8
	v_or_b32_e32 v3, v11, v3
	v_lshl_or_b32 v7, v10, 12, v1
	v_cmp_gt_i32_e32 vcc, 1, v10
	v_cndmask_b32_e32 v3, v7, v3, vcc
	v_and_b32_e32 v7, 7, v3
	v_cmp_lt_i32_e32 vcc, 5, v7
	v_cmp_eq_u32_e64 s[0:1], 3, v7
	v_cvt_f64_f32_e32 v[7:8], v8
	v_lshrrev_b32_e32 v3, 2, v3
	s_or_b64 vcc, s[0:1], vcc
	v_addc_co_u32_e32 v3, vcc, 0, v3, vcc
	v_mul_f64 v[7:8], v[7:8], s[2:3]
	v_cmp_gt_i32_e32 vcc, 31, v10
	v_cndmask_b32_e32 v3, v2, v3, vcc
	v_cmp_ne_u32_e32 vcc, 0, v1
	v_cndmask_b32_e64 v1, 0, 1, vcc
	v_lshl_or_b32 v1, v1, 9, v2
	v_cmp_eq_u32_e32 vcc, s8, v10
	v_cndmask_b32_e32 v1, v3, v1, vcc
	v_lshrrev_b32_e32 v3, 16, v4
	v_and_or_b32 v9, v3, s9, v1
	v_and_or_b32 v1, v8, s6, v7
	v_cmp_ne_u32_e32 vcc, 0, v1
	v_cndmask_b32_e64 v1, 0, 1, vcc
	v_lshrrev_b32_e32 v3, 8, v8
	v_bfe_u32 v4, v8, 20, 11
	v_and_or_b32 v3, v3, s7, v1
	v_sub_u32_e32 v7, 0x3f1, v4
	v_or_b32_e32 v1, 0x1000, v3
	v_med3_i32 v7, v7, 0, 13
	v_lshrrev_b32_e32 v10, v7, v1
	v_lshlrev_b32_e32 v7, v7, v10
	v_cmp_ne_u32_e32 vcc, v7, v1
	v_cndmask_b32_e64 v1, 0, 1, vcc
	v_add_u32_e32 v4, 0xfffffc10, v4
	v_or_b32_e32 v1, v10, v1
	v_lshl_or_b32 v7, v4, 12, v3
	v_cmp_gt_i32_e32 vcc, 1, v4
	v_cndmask_b32_e32 v1, v7, v1, vcc
	v_and_b32_e32 v7, 7, v1
	v_cmp_lt_i32_e32 vcc, 5, v7
	v_cmp_eq_u32_e64 s[0:1], 3, v7
	v_lshrrev_b32_e32 v1, 2, v1
	s_or_b64 vcc, s[0:1], vcc
	v_addc_co_u32_e32 v7, vcc, 0, v1, vcc
	ds_read2_b32 v[0:1], v0 offset0:12 offset1:90
	v_cmp_gt_i32_e32 vcc, 31, v4
	v_cndmask_b32_e32 v7, v2, v7, vcc
	v_cmp_ne_u32_e32 vcc, 0, v3
	v_cndmask_b32_e64 v3, 0, 1, vcc
	s_waitcnt lgkmcnt(0)
	v_lshrrev_b32_e32 v10, 16, v0
	v_mul_f16_sdwa v11, v46, v10 dst_sel:DWORD dst_unused:UNUSED_PAD src0_sel:WORD_1 src1_sel:DWORD
	v_fma_f16 v11, v46, v0, v11
	v_cvt_f32_f16_e32 v11, v11
	v_lshl_or_b32 v3, v3, 9, v2
	v_cmp_eq_u32_e32 vcc, s8, v4
	v_cndmask_b32_e32 v7, v7, v3, vcc
	v_cvt_f64_f32_e32 v[3:4], v11
	v_lshrrev_b32_e32 v8, 16, v8
	v_and_or_b32 v7, v8, s9, v7
	v_and_b32_e32 v8, 0xffff, v9
	v_mul_f64 v[3:4], v[3:4], s[2:3]
	v_lshl_or_b32 v7, v7, 16, v8
	v_mov_b32_e32 v8, s5
	v_add_co_u32_e32 v5, vcc, s4, v5
	v_addc_co_u32_e32 v6, vcc, v6, v8, vcc
	global_store_dword v[5:6], v7, off
	v_and_or_b32 v3, v4, s6, v3
	v_cmp_ne_u32_e32 vcc, 0, v3
	v_cndmask_b32_e64 v3, 0, 1, vcc
	v_lshrrev_b32_e32 v7, 8, v4
	v_bfe_u32 v8, v4, 20, 11
	v_and_or_b32 v3, v7, s7, v3
	v_sub_u32_e32 v9, 0x3f1, v8
	v_or_b32_e32 v7, 0x1000, v3
	v_med3_i32 v9, v9, 0, 13
	v_lshrrev_b32_e32 v11, v9, v7
	v_lshlrev_b32_e32 v9, v9, v11
	v_mul_f16_sdwa v0, v46, v0 dst_sel:DWORD dst_unused:UNUSED_PAD src0_sel:WORD_1 src1_sel:DWORD
	v_cmp_ne_u32_e32 vcc, v9, v7
	v_fma_f16 v0, v46, v10, -v0
	v_cndmask_b32_e64 v7, 0, 1, vcc
	v_add_u32_e32 v9, 0xfffffc10, v8
	v_cvt_f32_f16_e32 v0, v0
	v_or_b32_e32 v7, v11, v7
	v_lshl_or_b32 v8, v9, 12, v3
	v_cmp_gt_i32_e32 vcc, 1, v9
	v_cndmask_b32_e32 v7, v8, v7, vcc
	v_and_b32_e32 v8, 7, v7
	v_cmp_lt_i32_e32 vcc, 5, v8
	v_cmp_eq_u32_e64 s[0:1], 3, v8
	v_lshrrev_b32_e32 v10, 2, v7
	v_cvt_f64_f32_e32 v[7:8], v0
	s_or_b64 vcc, s[0:1], vcc
	v_addc_co_u32_e32 v0, vcc, 0, v10, vcc
	v_mul_f64 v[7:8], v[7:8], s[2:3]
	v_cmp_gt_i32_e32 vcc, 31, v9
	v_cndmask_b32_e32 v0, v2, v0, vcc
	v_cmp_ne_u32_e32 vcc, 0, v3
	v_cndmask_b32_e64 v3, 0, 1, vcc
	v_lshl_or_b32 v3, v3, 9, v2
	v_cmp_eq_u32_e32 vcc, s8, v9
	v_cndmask_b32_e32 v0, v0, v3, vcc
	v_lshrrev_b32_e32 v3, 16, v4
	v_and_or_b32 v0, v3, s9, v0
	v_and_or_b32 v3, v8, s6, v7
	v_cmp_ne_u32_e32 vcc, 0, v3
	v_cndmask_b32_e64 v3, 0, 1, vcc
	v_lshrrev_b32_e32 v4, 8, v8
	v_bfe_u32 v7, v8, 20, 11
	v_and_or_b32 v3, v4, s7, v3
	v_sub_u32_e32 v9, 0x3f1, v7
	v_or_b32_e32 v4, 0x1000, v3
	v_med3_i32 v9, v9, 0, 13
	v_lshrrev_b32_e32 v10, v9, v4
	v_lshlrev_b32_e32 v9, v9, v10
	v_cmp_ne_u32_e32 vcc, v9, v4
	v_cndmask_b32_e64 v4, 0, 1, vcc
	v_add_u32_e32 v7, 0xfffffc10, v7
	v_or_b32_e32 v4, v10, v4
	v_lshl_or_b32 v9, v7, 12, v3
	v_cmp_gt_i32_e32 vcc, 1, v7
	v_cndmask_b32_e32 v4, v9, v4, vcc
	v_and_b32_e32 v9, 7, v4
	v_cmp_lt_i32_e32 vcc, 5, v9
	v_cmp_eq_u32_e64 s[0:1], 3, v9
	v_lshrrev_b32_e32 v9, 16, v1
	v_lshrrev_b32_e32 v4, 2, v4
	s_or_b64 vcc, s[0:1], vcc
	v_mul_f16_sdwa v10, v45, v9 dst_sel:DWORD dst_unused:UNUSED_PAD src0_sel:WORD_1 src1_sel:DWORD
	v_addc_co_u32_e32 v4, vcc, 0, v4, vcc
	v_fma_f16 v10, v45, v1, v10
	v_cmp_gt_i32_e32 vcc, 31, v7
	v_cvt_f32_f16_e32 v10, v10
	v_cndmask_b32_e32 v4, v2, v4, vcc
	v_cmp_ne_u32_e32 vcc, 0, v3
	v_cndmask_b32_e64 v3, 0, 1, vcc
	v_lshl_or_b32 v3, v3, 9, v2
	v_cmp_eq_u32_e32 vcc, s8, v7
	v_cndmask_b32_e32 v7, v4, v3, vcc
	v_cvt_f64_f32_e32 v[3:4], v10
	v_lshrrev_b32_e32 v8, 16, v8
	v_and_or_b32 v7, v8, s9, v7
	v_and_b32_e32 v0, 0xffff, v0
	v_mul_f64 v[3:4], v[3:4], s[2:3]
	v_lshl_or_b32 v0, v7, 16, v0
	v_mov_b32_e32 v7, s5
	v_add_co_u32_e32 v5, vcc, s4, v5
	v_addc_co_u32_e32 v6, vcc, v6, v7, vcc
	global_store_dword v[5:6], v0, off
	v_and_or_b32 v0, v4, s6, v3
	v_cmp_ne_u32_e32 vcc, 0, v0
	v_cndmask_b32_e64 v0, 0, 1, vcc
	v_lshrrev_b32_e32 v3, 8, v4
	v_bfe_u32 v7, v4, 20, 11
	v_and_or_b32 v3, v3, s7, v0
	v_sub_u32_e32 v8, 0x3f1, v7
	v_or_b32_e32 v0, 0x1000, v3
	v_med3_i32 v8, v8, 0, 13
	v_lshrrev_b32_e32 v10, v8, v0
	v_lshlrev_b32_e32 v8, v8, v10
	v_mul_f16_sdwa v1, v45, v1 dst_sel:DWORD dst_unused:UNUSED_PAD src0_sel:WORD_1 src1_sel:DWORD
	v_cmp_ne_u32_e32 vcc, v8, v0
	v_fma_f16 v1, v45, v9, -v1
	v_cndmask_b32_e64 v0, 0, 1, vcc
	v_add_u32_e32 v7, 0xfffffc10, v7
	v_cvt_f32_f16_e32 v1, v1
	v_or_b32_e32 v0, v10, v0
	v_lshl_or_b32 v8, v7, 12, v3
	v_cmp_gt_i32_e32 vcc, 1, v7
	v_cndmask_b32_e32 v0, v8, v0, vcc
	v_and_b32_e32 v8, 7, v0
	v_cmp_lt_i32_e32 vcc, 5, v8
	v_cmp_eq_u32_e64 s[0:1], 3, v8
	v_lshrrev_b32_e32 v8, 2, v0
	v_cvt_f64_f32_e32 v[0:1], v1
	s_or_b64 vcc, s[0:1], vcc
	v_addc_co_u32_e32 v8, vcc, 0, v8, vcc
	v_mul_f64 v[0:1], v[0:1], s[2:3]
	v_cmp_gt_i32_e32 vcc, 31, v7
	v_cndmask_b32_e32 v8, v2, v8, vcc
	v_cmp_ne_u32_e32 vcc, 0, v3
	v_cndmask_b32_e64 v3, 0, 1, vcc
	v_lshl_or_b32 v3, v3, 9, v2
	v_cmp_eq_u32_e32 vcc, s8, v7
	v_cndmask_b32_e32 v3, v8, v3, vcc
	v_and_or_b32 v0, v1, s6, v0
	v_lshrrev_b32_e32 v4, 16, v4
	v_cmp_ne_u32_e32 vcc, 0, v0
	v_and_or_b32 v7, v4, s9, v3
	v_cndmask_b32_e64 v0, 0, 1, vcc
	v_lshrrev_b32_e32 v3, 8, v1
	v_bfe_u32 v4, v1, 20, 11
	v_and_or_b32 v0, v3, s7, v0
	v_sub_u32_e32 v8, 0x3f1, v4
	v_or_b32_e32 v3, 0x1000, v0
	v_med3_i32 v8, v8, 0, 13
	v_lshrrev_b32_e32 v9, v8, v3
	v_lshlrev_b32_e32 v8, v8, v9
	v_cmp_ne_u32_e32 vcc, v8, v3
	v_cndmask_b32_e64 v3, 0, 1, vcc
	v_add_u32_e32 v4, 0xfffffc10, v4
	v_or_b32_e32 v3, v9, v3
	v_lshl_or_b32 v8, v4, 12, v0
	v_cmp_gt_i32_e32 vcc, 1, v4
	v_cndmask_b32_e32 v3, v8, v3, vcc
	v_and_b32_e32 v8, 7, v3
	v_cmp_lt_i32_e32 vcc, 5, v8
	v_cmp_eq_u32_e64 s[0:1], 3, v8
	ds_read_b32 v8, v43 offset:3744
	v_lshrrev_b32_e32 v3, 2, v3
	s_or_b64 vcc, s[0:1], vcc
	v_addc_co_u32_e32 v3, vcc, 0, v3, vcc
	s_waitcnt lgkmcnt(0)
	v_lshrrev_b32_e32 v9, 16, v8
	v_mul_f16_sdwa v10, v44, v9 dst_sel:DWORD dst_unused:UNUSED_PAD src0_sel:WORD_1 src1_sel:DWORD
	v_fma_f16 v10, v44, v8, v10
	v_cmp_gt_i32_e32 vcc, 31, v4
	v_cvt_f32_f16_e32 v10, v10
	v_cndmask_b32_e32 v3, v2, v3, vcc
	v_cmp_ne_u32_e32 vcc, 0, v0
	v_cndmask_b32_e64 v0, 0, 1, vcc
	v_lshl_or_b32 v0, v0, 9, v2
	v_cmp_eq_u32_e32 vcc, s8, v4
	v_cndmask_b32_e32 v0, v3, v0, vcc
	v_cvt_f64_f32_e32 v[3:4], v10
	v_lshrrev_b32_e32 v1, 16, v1
	v_and_or_b32 v10, v1, s9, v0
	v_and_b32_e32 v7, 0xffff, v7
	v_mul_f64 v[0:1], v[3:4], s[2:3]
	v_mov_b32_e32 v4, s5
	v_add_co_u32_e32 v3, vcc, s4, v5
	v_addc_co_u32_e32 v4, vcc, v6, v4, vcc
	v_lshl_or_b32 v7, v10, 16, v7
	global_store_dword v[3:4], v7, off
	v_and_or_b32 v0, v1, s6, v0
	v_cmp_ne_u32_e32 vcc, 0, v0
	v_cndmask_b32_e64 v0, 0, 1, vcc
	v_lshrrev_b32_e32 v5, 8, v1
	v_bfe_u32 v6, v1, 20, 11
	v_and_or_b32 v0, v5, s7, v0
	v_sub_u32_e32 v7, 0x3f1, v6
	v_or_b32_e32 v5, 0x1000, v0
	v_med3_i32 v7, v7, 0, 13
	v_lshrrev_b32_e32 v10, v7, v5
	v_lshlrev_b32_e32 v7, v7, v10
	v_mul_f16_sdwa v8, v44, v8 dst_sel:DWORD dst_unused:UNUSED_PAD src0_sel:WORD_1 src1_sel:DWORD
	v_cmp_ne_u32_e32 vcc, v7, v5
	v_fma_f16 v8, v44, v9, -v8
	v_cndmask_b32_e64 v5, 0, 1, vcc
	v_add_u32_e32 v7, 0xfffffc10, v6
	v_cvt_f32_f16_e32 v8, v8
	v_or_b32_e32 v5, v10, v5
	v_lshl_or_b32 v6, v7, 12, v0
	v_cmp_gt_i32_e32 vcc, 1, v7
	v_cndmask_b32_e32 v5, v6, v5, vcc
	v_and_b32_e32 v6, 7, v5
	v_cmp_lt_i32_e32 vcc, 5, v6
	v_cmp_eq_u32_e64 s[0:1], 3, v6
	v_lshrrev_b32_e32 v9, 2, v5
	v_cvt_f64_f32_e32 v[5:6], v8
	s_or_b64 vcc, s[0:1], vcc
	v_addc_co_u32_e32 v8, vcc, 0, v9, vcc
	v_mul_f64 v[5:6], v[5:6], s[2:3]
	v_cmp_gt_i32_e32 vcc, 31, v7
	v_cndmask_b32_e32 v8, v2, v8, vcc
	v_cmp_ne_u32_e32 vcc, 0, v0
	v_cndmask_b32_e64 v0, 0, 1, vcc
	v_lshl_or_b32 v0, v0, 9, v2
	v_cmp_eq_u32_e32 vcc, s8, v7
	v_cndmask_b32_e32 v0, v8, v0, vcc
	v_lshrrev_b32_e32 v1, 16, v1
	v_and_or_b32 v0, v1, s9, v0
	v_and_or_b32 v1, v6, s6, v5
	v_cmp_ne_u32_e32 vcc, 0, v1
	v_cndmask_b32_e64 v1, 0, 1, vcc
	v_lshrrev_b32_e32 v5, 8, v6
	v_bfe_u32 v7, v6, 20, 11
	v_and_or_b32 v1, v5, s7, v1
	v_sub_u32_e32 v8, 0x3f1, v7
	v_or_b32_e32 v5, 0x1000, v1
	v_med3_i32 v8, v8, 0, 13
	v_lshrrev_b32_e32 v9, v8, v5
	v_lshlrev_b32_e32 v8, v8, v9
	v_cmp_ne_u32_e32 vcc, v8, v5
	v_cndmask_b32_e64 v5, 0, 1, vcc
	v_add_u32_e32 v7, 0xfffffc10, v7
	v_or_b32_e32 v5, v9, v5
	v_lshl_or_b32 v8, v7, 12, v1
	v_cmp_gt_i32_e32 vcc, 1, v7
	v_cndmask_b32_e32 v5, v8, v5, vcc
	v_and_b32_e32 v8, 7, v5
	v_cmp_lt_i32_e32 vcc, 5, v8
	v_cmp_eq_u32_e64 s[0:1], 3, v8
	v_lshrrev_b32_e32 v5, 2, v5
	s_or_b64 vcc, s[0:1], vcc
	v_addc_co_u32_e32 v5, vcc, 0, v5, vcc
	v_cmp_gt_i32_e32 vcc, 31, v7
	v_cndmask_b32_e32 v5, v2, v5, vcc
	v_cmp_ne_u32_e32 vcc, 0, v1
	v_cndmask_b32_e64 v1, 0, 1, vcc
	v_lshl_or_b32 v1, v1, 9, v2
	v_cmp_eq_u32_e32 vcc, s8, v7
	v_cndmask_b32_e32 v1, v5, v1, vcc
	v_lshrrev_b32_e32 v2, 16, v6
	v_and_or_b32 v1, v2, s9, v1
	v_and_b32_e32 v0, 0xffff, v0
	v_lshl_or_b32 v2, v1, 16, v0
	v_mov_b32_e32 v1, s5
	v_add_co_u32_e32 v0, vcc, s4, v3
	v_addc_co_u32_e32 v1, vcc, v4, v1, vcc
	global_store_dword v[0:1], v2, off
.LBB0_10:
	s_endpgm
	.section	.rodata,"a",@progbits
	.p2align	6, 0x0
	.amdhsa_kernel bluestein_single_fwd_len1014_dim1_half_op_CI_CI
		.amdhsa_group_segment_fixed_size 8112
		.amdhsa_private_segment_fixed_size 0
		.amdhsa_kernarg_size 104
		.amdhsa_user_sgpr_count 6
		.amdhsa_user_sgpr_private_segment_buffer 1
		.amdhsa_user_sgpr_dispatch_ptr 0
		.amdhsa_user_sgpr_queue_ptr 0
		.amdhsa_user_sgpr_kernarg_segment_ptr 1
		.amdhsa_user_sgpr_dispatch_id 0
		.amdhsa_user_sgpr_flat_scratch_init 0
		.amdhsa_user_sgpr_private_segment_size 0
		.amdhsa_uses_dynamic_stack 0
		.amdhsa_system_sgpr_private_segment_wavefront_offset 0
		.amdhsa_system_sgpr_workgroup_id_x 1
		.amdhsa_system_sgpr_workgroup_id_y 0
		.amdhsa_system_sgpr_workgroup_id_z 0
		.amdhsa_system_sgpr_workgroup_info 0
		.amdhsa_system_vgpr_workitem_id 0
		.amdhsa_next_free_vgpr 114
		.amdhsa_next_free_sgpr 26
		.amdhsa_reserve_vcc 1
		.amdhsa_reserve_flat_scratch 0
		.amdhsa_float_round_mode_32 0
		.amdhsa_float_round_mode_16_64 0
		.amdhsa_float_denorm_mode_32 3
		.amdhsa_float_denorm_mode_16_64 3
		.amdhsa_dx10_clamp 1
		.amdhsa_ieee_mode 1
		.amdhsa_fp16_overflow 0
		.amdhsa_exception_fp_ieee_invalid_op 0
		.amdhsa_exception_fp_denorm_src 0
		.amdhsa_exception_fp_ieee_div_zero 0
		.amdhsa_exception_fp_ieee_overflow 0
		.amdhsa_exception_fp_ieee_underflow 0
		.amdhsa_exception_fp_ieee_inexact 0
		.amdhsa_exception_int_div_zero 0
	.end_amdhsa_kernel
	.text
.Lfunc_end0:
	.size	bluestein_single_fwd_len1014_dim1_half_op_CI_CI, .Lfunc_end0-bluestein_single_fwd_len1014_dim1_half_op_CI_CI
                                        ; -- End function
	.section	.AMDGPU.csdata,"",@progbits
; Kernel info:
; codeLenInByte = 24716
; NumSgprs: 30
; NumVgprs: 114
; ScratchSize: 0
; MemoryBound: 0
; FloatMode: 240
; IeeeMode: 1
; LDSByteSize: 8112 bytes/workgroup (compile time only)
; SGPRBlocks: 3
; VGPRBlocks: 28
; NumSGPRsForWavesPerEU: 30
; NumVGPRsForWavesPerEU: 114
; Occupancy: 2
; WaveLimiterHint : 1
; COMPUTE_PGM_RSRC2:SCRATCH_EN: 0
; COMPUTE_PGM_RSRC2:USER_SGPR: 6
; COMPUTE_PGM_RSRC2:TRAP_HANDLER: 0
; COMPUTE_PGM_RSRC2:TGID_X_EN: 1
; COMPUTE_PGM_RSRC2:TGID_Y_EN: 0
; COMPUTE_PGM_RSRC2:TGID_Z_EN: 0
; COMPUTE_PGM_RSRC2:TIDIG_COMP_CNT: 0
	.type	__hip_cuid_ade221dddecd42d4,@object ; @__hip_cuid_ade221dddecd42d4
	.section	.bss,"aw",@nobits
	.globl	__hip_cuid_ade221dddecd42d4
__hip_cuid_ade221dddecd42d4:
	.byte	0                               ; 0x0
	.size	__hip_cuid_ade221dddecd42d4, 1

	.ident	"AMD clang version 19.0.0git (https://github.com/RadeonOpenCompute/llvm-project roc-6.4.0 25133 c7fe45cf4b819c5991fe208aaa96edf142730f1d)"
	.section	".note.GNU-stack","",@progbits
	.addrsig
	.addrsig_sym __hip_cuid_ade221dddecd42d4
	.amdgpu_metadata
---
amdhsa.kernels:
  - .args:
      - .actual_access:  read_only
        .address_space:  global
        .offset:         0
        .size:           8
        .value_kind:     global_buffer
      - .actual_access:  read_only
        .address_space:  global
        .offset:         8
        .size:           8
        .value_kind:     global_buffer
      - .actual_access:  read_only
        .address_space:  global
        .offset:         16
        .size:           8
        .value_kind:     global_buffer
      - .actual_access:  read_only
        .address_space:  global
        .offset:         24
        .size:           8
        .value_kind:     global_buffer
      - .actual_access:  read_only
        .address_space:  global
        .offset:         32
        .size:           8
        .value_kind:     global_buffer
      - .offset:         40
        .size:           8
        .value_kind:     by_value
      - .address_space:  global
        .offset:         48
        .size:           8
        .value_kind:     global_buffer
      - .address_space:  global
        .offset:         56
        .size:           8
        .value_kind:     global_buffer
      - .address_space:  global
        .offset:         64
        .size:           8
        .value_kind:     global_buffer
      - .address_space:  global
        .offset:         72
        .size:           8
        .value_kind:     global_buffer
      - .offset:         80
        .size:           4
        .value_kind:     by_value
      - .address_space:  global
        .offset:         88
        .size:           8
        .value_kind:     global_buffer
      - .address_space:  global
        .offset:         96
        .size:           8
        .value_kind:     global_buffer
    .group_segment_fixed_size: 8112
    .kernarg_segment_align: 8
    .kernarg_segment_size: 104
    .language:       OpenCL C
    .language_version:
      - 2
      - 0
    .max_flat_workgroup_size: 156
    .name:           bluestein_single_fwd_len1014_dim1_half_op_CI_CI
    .private_segment_fixed_size: 0
    .sgpr_count:     30
    .sgpr_spill_count: 0
    .symbol:         bluestein_single_fwd_len1014_dim1_half_op_CI_CI.kd
    .uniform_work_group_size: 1
    .uses_dynamic_stack: false
    .vgpr_count:     114
    .vgpr_spill_count: 0
    .wavefront_size: 64
amdhsa.target:   amdgcn-amd-amdhsa--gfx906
amdhsa.version:
  - 1
  - 2
...

	.end_amdgpu_metadata
